;; amdgpu-corpus repo=ROCm/aiter kind=harvested arch=n/a opt=n/a

/root/src/amdgpu-assembly/repos/ROCm__aiter/hsa/gfx942/mla/mla_a8w8_qh16_qseqlen1_gqaratio16_ps.co:	file format elf64-amdgpu

Disassembly of section .text:

0000000000002300 <_ZN5aiter36mla_a8w8_qh16_qseqlen1_gqaratio16_psE>:
	s_and_b32 s1, s1, 0xffff                                   // 000000002300: 8601FF01 0000FFFF
	s_load_dwordx2 s[28:29], s[0:1], 0xe0                      // 000000002308: C0060700 000000E0
	v_lshrrev_b32_e32 v1, 10, v0                               // 000000002310: 2002008A
	v_lshrrev_b32_e32 v2, 10, v1                               // 000000002314: 2004028A
	v_and_b32_e32 v2, 0x3ff, v2                                // 000000002318: 260404FF 000003FF
	v_and_b32_e32 v1, 0x3ff, v1                                // 000000002320: 260202FF 000003FF
	v_and_b32_e32 v0, 0x3ff, v0                                // 000000002328: 260000FF 000003FF
	v_lshrrev_b32_e32 v3, 6, v0                                // 000000002330: 20060086
	v_and_b32_e32 v0, 63, v0                                   // 000000002334: 260000BF
	s_mov_b32 s2, s2                                           // 000000002338: BE820002
	s_mov_b32 s3, s3                                           // 00000000233C: BE830003
	s_mov_b32 s4, s4                                           // 000000002340: BE840004
	v_readfirstlane_b32 s7, v3                                 // 000000002344: 7E0E0503
	s_waitcnt lgkmcnt(0)                                       // 000000002348: BF8CC07F
	s_and_b32 s29, s29, 0xffff                                 // 00000000234C: 861DFF1D 0000FFFF
	s_load_dwordx2 s[32:33], s[28:29], 0x0                     // 000000002354: C006080E 00000000
	s_load_dwordx2 s[30:31], s[28:29], 0x8                     // 00000000235C: C006078E 00000008
	s_waitcnt lgkmcnt(0)                                       // 000000002364: BF8CC07F
	s_mul_i32 s56, s2, 4                                       // 000000002368: 92388402
	s_and_b32 s33, s33, 0xffff                                 // 00000000236C: 8621FF21 0000FFFF
	s_add_u32 s32, s56, s32                                    // 000000002374: 80202038
	s_addc_u32 s33, 0, s33                                     // 000000002378: 82212180
	s_load_dword s85, s[32:33], 0x0                            // 00000000237C: C0021550 00000000
	s_load_dword s86, s[32:33], 0x4                            // 000000002384: C0021590 00000004
	s_and_b32 s31, s31, 0xffff                                 // 00000000238C: 861FFF1F 0000FFFF
	s_waitcnt lgkmcnt(0)                                       // 000000002394: BF8CC07F
	s_cmp_eq_i32 s85, s86                                      // 000000002398: BF005655
	s_cbranch_scc1 label_1344                                  // 00000000239C: BF8512FA
	s_mul_i32 s56, s85, 32                                     // 0000000023A0: 9238A055

00000000000023a4 <label_0029>:
	s_waitcnt vmcnt(0) expcnt(0) lgkmcnt(0)                    // 0000000023A4: BF8C0000
	s_barrier                                                  // 0000000023A8: BF8A0000
	s_add_u32 s30, s56, s30                                    // 0000000023AC: 801E1E38
	s_addc_u32 s31, 0, s31                                     // 0000000023B0: 821F1F80
	s_load_dword s87, s[30:31], 0x4                            // 0000000023B4: C00215CF 00000004
	s_load_dword s78, s[30:31], 0x8                            // 0000000023BC: C002138F 00000008
	s_load_dword s79, s[30:31], 0xc                            // 0000000023C4: C00213CF 0000000C
	s_load_dword s46, s[30:31], 0x10                           // 0000000023CC: C0020B8F 00000010
	s_load_dword s47, s[30:31], 0x14                           // 0000000023D4: C0020BCF 00000014
	s_load_dword s77, s[30:31], 0x18                           // 0000000023DC: C002134F 00000018
	s_load_dwordx2 s[8:9], s[0:1], 0x0                         // 0000000023E4: C0060200 00000000
	s_load_dwordx2 s[12:13], s[0:1], 0x10                      // 0000000023EC: C0060300 00000010
	s_load_dwordx2 s[16:17], s[0:1], 0x20                      // 0000000023F4: C0060400 00000020
	s_load_dwordx2 s[20:21], s[0:1], 0x30                      // 0000000023FC: C0060500 00000030
	s_load_dwordx2 s[24:25], s[0:1], 0x50                      // 000000002404: C0060600 00000050
	s_load_dword s64, s[0:1], 0x70                             // 00000000240C: C0021000 00000070
	s_load_dword s65, s[0:1], 0x80                             // 000000002414: C0021040 00000080
	s_load_dword s67, s[0:1], 0x90                             // 00000000241C: C00210C0 00000090
	s_load_dword s66, s[0:1], 0xa0                             // 000000002424: C0021080 000000A0
	s_load_dword s68, s[0:1], 0xb0                             // 00000000242C: C0021100 000000B0
	s_load_dword s69, s[0:1], 0xc0                             // 000000002434: C0021140 000000C0
	s_load_dwordx2 s[88:89], s[0:1], 0xf0                      // 00000000243C: C0061600 000000F0
	s_load_dwordx2 s[38:39], s[0:1], 0x100                     // 000000002444: C0060980 00000100
	s_load_dwordx2 s[40:41], s[0:1], 0x110                     // 00000000244C: C0060A00 00000110
	s_waitcnt lgkmcnt(0)                                       // 000000002454: BF8CC07F
	s_min_u32 s76, 16, s65                                     // 000000002458: 83CC4190
	s_mul_i32 s74, 0x240, s65                                  // 00000000245C: 924A41FF 00000240
	s_mul_i32 s56, 4, s65                                      // 000000002464: 92384184
	s_mov_b32 s18, s74                                         // 000000002468: BE92004A
	s_mov_b32 s14, s56                                         // 00000000246C: BE8E0038
	s_mov_b32 s22, -16                                         // 000000002470: BE9600D0
	s_mov_b32 s26, -16                                         // 000000002474: BE9A00D0
	s_mov_b32 s11, 0x20000                                     // 000000002478: BE8B00FF 00020000
	s_mov_b32 s91, 0x20000                                     // 000000002480: BEDB00FF 00020000
	s_mov_b32 s19, 0x20000                                     // 000000002488: BE9300FF 00020000
	s_mov_b32 s15, 0x20000                                     // 000000002490: BE8F00FF 00020000
	s_mov_b32 s23, 0x20000                                     // 000000002498: BE9700FF 00020000
	s_mov_b32 s27, 0x20000                                     // 0000000024A0: BE9B00FF 00020000
	s_and_b32 s9, s9, 0xffff                                   // 0000000024A8: 8609FF09 0000FFFF
	s_and_b32 s89, s89, 0xffff                                 // 0000000024B0: 8659FF59 0000FFFF
	s_and_b32 s17, s17, 0xffff                                 // 0000000024B8: 8611FF11 0000FFFF
	s_and_b32 s13, s13, 0xffff                                 // 0000000024C0: 860DFF0D 0000FFFF
	s_and_b32 s21, s21, 0xffff                                 // 0000000024C8: 8615FF15 0000FFFF
	s_and_b32 s25, s25, 0xffff                                 // 0000000024D0: 8619FF19 0000FFFF
	s_and_b32 s39, s39, 0xffff                                 // 0000000024D8: 8627FF27 0000FFFF
	s_and_b32 s41, s41, 0xffff                                 // 0000000024E0: 8629FF29 0000FFFF
	s_or_b32 s9, s9, 0x40000                                   // 0000000024E8: 8709FF09 00040000
	s_or_b32 s89, s89, 0x40000                                 // 0000000024F0: 8759FF59 00040000
	s_or_b32 s17, s17, 0x40000                                 // 0000000024F8: 8711FF11 00040000
	s_or_b32 s13, s13, 0x40000                                 // 000000002500: 870DFF0D 00040000
	s_or_b32 s21, s21, 0x40000                                 // 000000002508: 8715FF15 00040000
	s_or_b32 s25, s25, 0x40000                                 // 000000002510: 8719FF19 00040000
	s_mov_b32 s81, 1                                           // 000000002518: BED10081
	s_mov_b32 s67, 1                                           // 00000000251C: BEC30081
	s_mov_b32 s80, 0                                           // 000000002520: BED00080
	s_waitcnt lgkmcnt(0)                                       // 000000002524: BF8CC07F
	s_load_dword s42, s[38:39], 0x0                            // 000000002528: C0020A93 00000000
	s_load_dword s43, s[40:41], 0x0                            // 000000002530: C0020AD4 00000000
	s_mov_b32 s69, 0                                           // 000000002538: BEC50080
	s_lshr_b32 s44, 64, s69                                    // 00000000253C: 8F2C45C0
	s_mul_i32 s73, s44, 4                                      // 000000002540: 9249842C
	s_mul_i32 s73, s73, s67                                    // 000000002544: 92494349
	s_mul_i32 s45, s4, s44                                     // 000000002548: 922D2C04
	s_sub_u32 s50, s47, s46                                    // 00000000254C: 80B22E2F
	s_mul_i32 s58, 4, 16                                       // 000000002550: 923A9084
	s_mul_i32 s56, s87, s58                                    // 000000002554: 92383A57
	s_add_u32 s12, s56, s12                                    // 000000002558: 800C0C38
	s_addc_u32 s13, 0, s13                                     // 00000000255C: 820D0D80
	s_mov_b32 s14, 64                                          // 000000002560: BE8E00C0
	v_and_b32_e32 v16, 15, v0                                  // 000000002564: 2620008F
	v_lshlrev_b32_e32 v16, 2, v16                              // 000000002568: 24202082
	s_cmp_le_u32 s50, s45                                      // 00000000256C: BF0B2D32
	s_cbranch_scc1 label_1344                                  // 000000002570: BF851285
	s_mul_i32 s56, s50, 4                                      // 000000002574: 92388432
	s_mov_b32 s26, s56                                         // 000000002578: BE9A0038
	s_mul_i32 s56, s46, 4                                      // 00000000257C: 9238842E
	s_add_u32 s24, s56, s24                                    // 000000002580: 80181838
	s_addc_u32 s25, 0, s25                                     // 000000002584: 82191980
	s_mov_b32 s70, 0                                           // 000000002588: BEC60080
	s_sub_u32 s71, s50, s45                                    // 00000000258C: 80C72D32
	s_mul_i32 s35, s67, s44                                    // 000000002590: 92232C43
	s_mov_b32 s34, s71                                         // 000000002594: BEA20047
	v_cvt_f32_u32_e32 v32, s35                                 // 000000002598: 7E400C23
	s_sub_i32 s56, 0, s35                                      // 00000000259C: 81B82380
	v_rcp_iflag_f32_e32 v32, v32                               // 0000000025A0: 7E404720
	s_nop 0                                                    // 0000000025A4: BF800000
	v_mul_f32_e32 v32, 0x4f7ffffe, v32                         // 0000000025A8: 0A4040FF 4F7FFFFE
	v_cvt_u32_f32_e32 v32, v32                                 // 0000000025B0: 7E400F20
	v_mul_lo_u32 v33, s56, v32                                 // 0000000025B4: D2850021 00024038
	v_mul_hi_u32 v33, v32, v33                                 // 0000000025BC: D2860021 00024320
	v_add_u32_e32 v32, v32, v33                                // 0000000025C4: 68404320
	v_mul_hi_u32 v32, s34, v32                                 // 0000000025C8: D2860020 00024022
	v_mul_lo_u32 v33, v32, s35                                 // 0000000025D0: D2850021 00004720
	v_sub_u32_e32 v35, s34, v33                                // 0000000025D8: 6A464222
	v_add_u32_e32 v34, 1, v32                                  // 0000000025DC: 68444081
	v_cmp_le_u32_e32 vcc, s35, v35                             // 0000000025E0: 7D964623
	v_subrev_u32_e32 v33, s35, v35                             // 0000000025E4: 6C424623
	s_nop 0                                                    // 0000000025E8: BF800000
	v_cndmask_b32_e32 v32, v32, v34, vcc                       // 0000000025EC: 00404520
	v_cndmask_b32_e32 v35, v35, v33, vcc                       // 0000000025F0: 00464323
	v_add_u32_e32 v33, 1, v32                                  // 0000000025F4: 68424081
	v_cmp_le_u32_e32 vcc, s35, v35                             // 0000000025F8: 7D964623
	s_nop 1                                                    // 0000000025FC: BF800001
	v_cndmask_b32_e32 v35, v32, v33, vcc                       // 000000002600: 00464320
	s_nop 3                                                    // 000000002604: BF800003
	v_readfirstlane_b32 s36, v35                               // 000000002608: 7E480523
	s_nop 3                                                    // 00000000260C: BF800003
	s_mov_b32 s71, s36                                         // 000000002610: BEC70024
	s_mul_i32 s56, s71, s35                                    // 000000002614: 92382347
	s_sub_u32 s56, s34, s56                                    // 000000002618: 80B83822
	s_mov_b32 s57, 0                                           // 00000000261C: BEB90080
	s_cmp_lt_u32 s56, s44                                      // 000000002620: BF0A2C38
	s_cselect_b32 s57, s57, 1                                  // 000000002624: 85398139
	s_add_u32 s71, s57, s71                                    // 000000002628: 80474739
	s_cmpk_eq_u32 s57, 0x1                                     // 00000000262C: B4390001
	s_cselect_b32 s49, 0, s56                                  // 000000002630: 85313880
	s_mov_b32 s48, s49                                         // 000000002634: BEB00031
	v_lshrrev_b32_e32 v32, 3, v0                               // 000000002638: 20400083
	v_and_b32_e32 v33, 1, v32                                  // 00000000263C: 26424081
	v_lshlrev_b32_e32 v26, 5, v33                              // 000000002640: 24344285
	v_lshrrev_b32_e32 v32, 1, v32                              // 000000002644: 20404081
	v_lshlrev_b32_e32 v32, 3, v32                              // 000000002648: 24404083
	v_add_u32_e32 v26, v26, v32                                // 00000000264C: 6834411A
	v_and_b32_e32 v32, 7, v0                                   // 000000002650: 26400087
	v_add_u32_e32 v26, v26, v32                                // 000000002654: 6834411A
	v_add_u32_e32 v26, s45, v26                                // 000000002658: 6834342D
	v_lshlrev_b32_e32 v26, 2, v26                              // 00000000265C: 24343482
	buffer_load_dword v24, v26, s[24:27], 0 offen              // 000000002660: E0501000 8006181A
	v_add_u32_e32 v26, s73, v26                                // 000000002668: 68343449
	buffer_load_dword v25, v26, s[24:27], 0 offen              // 00000000266C: E0501000 8006191A
	v_add_u32_e32 v26, s73, v26                                // 000000002674: 68343449
	s_mul_i32 s56, 0x240, 16                                   // 000000002678: 923890FF 00000240
	s_mul_i32 s56, s78, s56                                    // 000000002680: 9238384E
	s_add_u32 s16, s56, s16                                    // 000000002684: 80101038
	s_addc_u32 s17, 0, s17                                     // 000000002688: 82111180
	s_mul_i32 s56, s7, 0xc20                                   // 00000000268C: 9238FF07 00000C20
	s_add_u32 m0, 0, s56                                       // 000000002694: 807C3880
	s_mul_i32 s56, s7, 0x240                                   // 000000002698: 9238FF07 00000240
	v_lshlrev_b32_e32 v32, 2, v0                               // 0000000026A0: 24400082
	v_add_u32_e64 v32, v32, s56                                // 0000000026A4: D1340020 00007120
	buffer_load_dword v32, s[16:19], 0 offen lds               // 0000000026AC: E0511000 80040020
	buffer_load_dword v32, s[16:19], 0 offen offset:256 lds    // 0000000026B4: E0511100 80040020
	buffer_load_dword v32, s[16:19], 0 offen offset:512 lds    // 0000000026BC: E0511200 80040020
	s_add_u32 m0, m0, 0x300                                    // 0000000026C4: 807CFF7C 00000300
	v_add_u32_e32 v32, 0x900, v32                              // 0000000026CC: 684040FF 00000900
	buffer_load_dword v32, s[16:19], 0 offen lds               // 0000000026D4: E0511000 80040020
	buffer_load_dword v32, s[16:19], 0 offen offset:256 lds    // 0000000026DC: E0511100 80040020
	buffer_load_dword v32, s[16:19], 0 offen offset:512 lds    // 0000000026E4: E0511200 80040020
	s_add_u32 m0, m0, 0x300                                    // 0000000026EC: 807CFF7C 00000300
	v_add_u32_e32 v32, 0x900, v32                              // 0000000026F4: 684040FF 00000900
	buffer_load_dword v32, s[16:19], 0 offen lds               // 0000000026FC: E0511000 80040020
	buffer_load_dword v32, s[16:19], 0 offen offset:256 lds    // 000000002704: E0511100 80040020
	buffer_load_dword v32, s[16:19], 0 offen offset:512 lds    // 00000000270C: E0511200 80040020
	s_add_u32 m0, m0, 0x300                                    // 000000002714: 807CFF7C 00000300
	v_add_u32_e32 v32, 0x900, v32                              // 00000000271C: 684040FF 00000900
	buffer_load_dword v32, s[16:19], 0 offen lds               // 000000002724: E0511000 80040020
	buffer_load_dword v32, s[16:19], 0 offen offset:256 lds    // 00000000272C: E0511100 80040020
	buffer_load_dword v32, s[16:19], 0 offen offset:512 lds    // 000000002734: E0511200 80040020
	s_add_u32 m0, m0, 0x300                                    // 00000000273C: 807CFF7C 00000300
	v_add_u32_e32 v32, 0x900, v32                              // 000000002744: 684040FF 00000900
	v_mov_b32_e32 v10, s68                                     // 00000000274C: 7E140244
	s_mov_b32 s52, 0x7060302                                   // 000000002750: BEB400FF 07060302
	s_mov_b32 s53, 0x5040100                                   // 000000002758: BEB500FF 05040100
	s_mov_b32 s54, 0x5010400                                   // 000000002760: BEB600FF 05010400
	s_mov_b32 s55, 0x7030602                                   // 000000002768: BEB700FF 07030602
	s_mul_i32 s51, s7, 4                                       // 000000002770: 92338407
	s_mov_b32 s6, 0x3fb8aa3b                                   // 000000002774: BE8600FF 3FB8AA3B
	v_mov_b32_e32 v33, s6                                      // 00000000277C: 7E420206
	v_mov_b32_e32 v32, s64                                     // 000000002780: 7E400240
	v_mul_f32_e32 v32, s6, v32                                 // 000000002784: 0A404006
	v_rcp_f32_e32 v33, v33                                     // 000000002788: 7E424521
	v_mov_b32_e32 v12, 0xff800000                              // 00000000278C: 7E1802FF FF800000
	v_mov_b32_e32 v11, 0xff800000                              // 000000002794: 7E1602FF FF800000
	v_mov_b32_e32 v18, 0                                       // 00000000279C: 7E240280
	v_mov_b32_e32 v14, 0                                       // 0000000027A0: 7E1C0280
	v_mov_b32_e32 v29, 0xffff0000                              // 0000000027A4: 7E3A02FF FFFF0000
	v_mov_b32_e32 v30, 0x7fff0000                              // 0000000027AC: 7E3C02FF 7FFF0000
	v_mov_b32_e32 v31, 0x7fff                                  // 0000000027B4: 7E3E02FF 00007FFF
	v_readfirstlane_b32 s5, v32                                // 0000000027BC: 7E0A0520
	v_readfirstlane_b32 s63, v33                               // 0000000027C0: 7E7E0521
	s_waitcnt lgkmcnt(0)                                       // 0000000027C4: BF8CC07F
	v_mov_b32_e32 v32, s42                                     // 0000000027C8: 7E40022A
	v_mul_f32_e32 v32, s43, v32                                // 0000000027CC: 0A40402B
	v_mul_f32_e32 v33, s5, v32                                 // 0000000027D0: 0A424005
	v_mul_f32_e32 v35, s64, v32                                // 0000000027D4: 0A464040
	v_readfirstlane_b32 s5, v33                                // 0000000027D8: 7E0A0521
	v_readfirstlane_b32 s64, v35                               // 0000000027DC: 7E800523
	v_and_b32_e32 v4, 15, v0                                   // 0000000027E0: 2608008F
	v_lshlrev_b32_e32 v4, 2, v4                                // 0000000027E4: 24080882
	v_lshlrev_b32_e32 v5, 2, v0                                // 0000000027E8: 240A0082
	s_mul_i32 s56, 0x100, s7                                   // 0000000027EC: 923807FF 00000100
	v_add_u32_e32 v5, s56, v5                                  // 0000000027F4: 680A0A38
	v_and_b32_e32 v32, 15, v0                                  // 0000000027F8: 2640008F
	v_mul_i32_i24_e32 v32, 18, v32                             // 0000000027FC: 0C404092
	v_lshrrev_b32_e32 v33, 4, v0                               // 000000002800: 20420084
	v_lshlrev_b32_e32 v33, 1, v33                              // 000000002804: 24424281
	v_add_u32_e32 v6, v33, v32                                 // 000000002808: 680C4121
	v_lshlrev_b32_e32 v6, 2, v6                                // 00000000280C: 240C0C82
	v_and_b32_e32 v32, 15, v0                                  // 000000002810: 2640008F
	v_mul_i32_i24_e32 v32, 18, v32                             // 000000002814: 0C404092
	v_lshrrev_b32_e32 v33, 4, v0                               // 000000002818: 20420084
	s_mul_i32 s56, s7, 4                                       // 00000000281C: 92388407
	v_add_u32_e32 v33, s56, v33                                // 000000002820: 68424238
	v_add_u32_e32 v7, v33, v32                                 // 000000002824: 680E4121
	v_lshlrev_b32_e32 v7, 2, v7                                // 000000002828: 240E0E82
	v_and_b32_e32 v32, 15, v0                                  // 00000000282C: 2640008F
	v_lshlrev_b32_e32 v2, 2, v32                               // 000000002830: 24044082
	v_lshlrev_b32_e32 v3, 2, v32                               // 000000002834: 24064082
	s_mul_i32 s56, s7, 0x80                                    // 000000002838: 9238FF07 00000080
	v_add_u32_e32 v2, s56, v2                                  // 000000002840: 68040438
	s_mul_i32 s56, 4, 0x80                                     // 000000002844: 9238FF84 00000080
	v_add_u32_e32 v3, s56, v3                                  // 00000000284C: 68060638
	s_waitcnt vmcnt(12)                                        // 000000002850: BF8C0F7C
	v_mul_u32_u24_dpp v40, v24, v10 row_newbcast:0 row_mask:0xf bank_mask:0xf// 000000002854: 105014FA FF015018
	v_mul_u32_u24_dpp v41, v24, v10 row_newbcast:1 row_mask:0xf bank_mask:0xf// 00000000285C: 105214FA FF015118
	v_mul_u32_u24_dpp v42, v24, v10 row_newbcast:2 row_mask:0xf bank_mask:0xf// 000000002864: 105414FA FF015218
	v_mul_u32_u24_dpp v43, v24, v10 row_newbcast:3 row_mask:0xf bank_mask:0xf// 00000000286C: 105614FA FF015318
	v_mul_u32_u24_dpp v44, v24, v10 row_newbcast:4 row_mask:0xf bank_mask:0xf// 000000002874: 105814FA FF015418
	v_mul_u32_u24_dpp v45, v24, v10 row_newbcast:5 row_mask:0xf bank_mask:0xf// 00000000287C: 105A14FA FF015518
	v_mul_u32_u24_dpp v46, v24, v10 row_newbcast:6 row_mask:0xf bank_mask:0xf// 000000002884: 105C14FA FF015618
	v_mul_u32_u24_dpp v47, v24, v10 row_newbcast:7 row_mask:0xf bank_mask:0xf// 00000000288C: 105E14FA FF015718
	v_mul_u32_u24_dpp v48, v24, v10 row_newbcast:8 row_mask:0xf bank_mask:0xf// 000000002894: 106014FA FF015818
	v_mul_u32_u24_dpp v49, v24, v10 row_newbcast:9 row_mask:0xf bank_mask:0xf// 00000000289C: 106214FA FF015918
	v_mul_u32_u24_dpp v50, v24, v10 row_newbcast:10 row_mask:0xf bank_mask:0xf// 0000000028A4: 106414FA FF015A18
	v_mul_u32_u24_dpp v51, v24, v10 row_newbcast:11 row_mask:0xf bank_mask:0xf// 0000000028AC: 106614FA FF015B18
	v_mul_u32_u24_dpp v52, v24, v10 row_newbcast:12 row_mask:0xf bank_mask:0xf// 0000000028B4: 106814FA FF015C18
	v_mul_u32_u24_dpp v53, v24, v10 row_newbcast:13 row_mask:0xf bank_mask:0xf// 0000000028BC: 106A14FA FF015D18
	v_mul_u32_u24_dpp v54, v24, v10 row_newbcast:14 row_mask:0xf bank_mask:0xf// 0000000028C4: 106C14FA FF015E18
	v_mul_u32_u24_dpp v55, v24, v10 row_newbcast:15 row_mask:0xf bank_mask:0xf// 0000000028CC: 106E14FA FF015F18
	s_mov_b32 s56, m0                                          // 0000000028D4: BEB8007C
	s_set_gpr_idx_on s51, gpr_idx(SRC0)                        // 0000000028D8: BF110133
	v_add_u32_e32 v36, v40, v3                                 // 0000000028DC: 68480728
	v_add_u32_e32 v37, v41, v3                                 // 0000000028E0: 684A0729
	v_add_u32_e32 v38, v42, v3                                 // 0000000028E4: 684C072A
	v_add_u32_e32 v39, v43, v3                                 // 0000000028E8: 684E072B
	s_set_gpr_idx_off                                          // 0000000028EC: BF9C0000
	s_mov_b32 m0, s56                                          // 0000000028F0: BEFC0038
	v_add_u32_e32 v40, v40, v2                                 // 0000000028F4: 68500528
	v_add_u32_e32 v41, v41, v2                                 // 0000000028F8: 68520529
	v_add_u32_e32 v42, v42, v2                                 // 0000000028FC: 6854052A
	v_add_u32_e32 v43, v43, v2                                 // 000000002900: 6856052B
	v_add_u32_e32 v44, v44, v2                                 // 000000002904: 6858052C
	v_add_u32_e32 v45, v45, v2                                 // 000000002908: 685A052D
	v_add_u32_e32 v46, v46, v2                                 // 00000000290C: 685C052E
	v_add_u32_e32 v47, v47, v2                                 // 000000002910: 685E052F
	v_add_u32_e32 v48, v48, v2                                 // 000000002914: 68600530
	v_add_u32_e32 v49, v49, v2                                 // 000000002918: 68620531
	v_add_u32_e32 v50, v50, v2                                 // 00000000291C: 68640532
	v_add_u32_e32 v51, v51, v2                                 // 000000002920: 68660533
	v_add_u32_e32 v52, v52, v2                                 // 000000002924: 68680534
	v_add_u32_e32 v53, v53, v2                                 // 000000002928: 686A0535
	v_add_u32_e32 v54, v54, v2                                 // 00000000292C: 686C0536
	v_add_u32_e32 v55, v55, v2                                 // 000000002930: 686E0537
	buffer_load_dword v124, v40, s[20:23], 0 offen             // 000000002934: E0501000 80057C28
	buffer_load_dword v125, v40, s[20:23], 0 offen offset:64   // 00000000293C: E0501040 80057D28
	buffer_load_dword v126, v41, s[20:23], 0 offen             // 000000002944: E0501000 80057E29
	buffer_load_dword v127, v41, s[20:23], 0 offen offset:64   // 00000000294C: E0501040 80057F29
	buffer_load_dword v128, v42, s[20:23], 0 offen             // 000000002954: E0501000 8005802A
	buffer_load_dword v129, v42, s[20:23], 0 offen offset:64   // 00000000295C: E0501040 8005812A
	buffer_load_dword v130, v43, s[20:23], 0 offen             // 000000002964: E0501000 8005822B
	buffer_load_dword v131, v43, s[20:23], 0 offen offset:64   // 00000000296C: E0501040 8005832B
	buffer_load_dword v132, v44, s[20:23], 0 offen             // 000000002974: E0501000 8005842C
	buffer_load_dword v133, v44, s[20:23], 0 offen offset:64   // 00000000297C: E0501040 8005852C
	buffer_load_dword v134, v45, s[20:23], 0 offen             // 000000002984: E0501000 8005862D
	buffer_load_dword v135, v45, s[20:23], 0 offen offset:64   // 00000000298C: E0501040 8005872D
	buffer_load_dword v136, v46, s[20:23], 0 offen             // 000000002994: E0501000 8005882E
	buffer_load_dword v137, v46, s[20:23], 0 offen offset:64   // 00000000299C: E0501040 8005892E
	buffer_load_dword v138, v47, s[20:23], 0 offen             // 0000000029A4: E0501000 80058A2F
	buffer_load_dword v139, v47, s[20:23], 0 offen offset:64   // 0000000029AC: E0501040 80058B2F
	buffer_load_dword v140, v48, s[20:23], 0 offen             // 0000000029B4: E0501000 80058C30
	buffer_load_dword v141, v48, s[20:23], 0 offen offset:64   // 0000000029BC: E0501040 80058D30
	buffer_load_dword v142, v49, s[20:23], 0 offen             // 0000000029C4: E0501000 80058E31
	buffer_load_dword v143, v49, s[20:23], 0 offen offset:64   // 0000000029CC: E0501040 80058F31
	buffer_load_dword v144, v50, s[20:23], 0 offen             // 0000000029D4: E0501000 80059032
	buffer_load_dword v145, v50, s[20:23], 0 offen offset:64   // 0000000029DC: E0501040 80059132
	buffer_load_dword v146, v51, s[20:23], 0 offen             // 0000000029E4: E0501000 80059233
	buffer_load_dword v147, v51, s[20:23], 0 offen offset:64   // 0000000029EC: E0501040 80059333
	buffer_load_dword v148, v52, s[20:23], 0 offen             // 0000000029F4: E0501000 80059434
	buffer_load_dword v149, v52, s[20:23], 0 offen offset:64   // 0000000029FC: E0501040 80059534
	buffer_load_dword v150, v53, s[20:23], 0 offen             // 000000002A04: E0501000 80059635
	buffer_load_dword v151, v53, s[20:23], 0 offen offset:64   // 000000002A0C: E0501040 80059735
	buffer_load_dword v152, v54, s[20:23], 0 offen             // 000000002A14: E0501000 80059836
	buffer_load_dword v153, v54, s[20:23], 0 offen offset:64   // 000000002A1C: E0501040 80059936
	buffer_load_dword v154, v55, s[20:23], 0 offen             // 000000002A24: E0501000 80059A37
	buffer_load_dword v155, v55, s[20:23], 0 offen offset:64   // 000000002A2C: E0501040 80059B37
	buffer_load_dword v72, v36, s[20:23], 0 offen              // 000000002A34: E0501000 80054824
	buffer_load_dword v73, v37, s[20:23], 0 offen              // 000000002A3C: E0501000 80054925
	buffer_load_dword v74, v38, s[20:23], 0 offen              // 000000002A44: E0501000 80054A26
	buffer_load_dword v75, v39, s[20:23], 0 offen              // 000000002A4C: E0501000 80054B27
	buffer_load_dword v24, v26, s[24:27], 0 offen              // 000000002A54: E0501000 8006181A
	v_add_u32_e32 v26, s73, v26                                // 000000002A5C: 68343449
	v_lshrrev_b32_e32 v32, 4, v0                               // 000000002A60: 20400084
	v_lshlrev_b32_e32 v33, 2, v32                              // 000000002A64: 24424082
	v_and_b32_e32 v32, 15, v0                                  // 000000002A68: 2640008F
	v_lshrrev_b32_e32 v34, 2, v32                              // 000000002A6C: 20444082
	v_mul_i32_i24_e32 v34, 0xc0, v34                           // 000000002A70: 0C4444FF 000000C0
	v_add_u32_e32 v33, v34, v33                                // 000000002A78: 68424322
	v_and_b32_e32 v32, 3, v0                                   // 000000002A7C: 26400083
	v_mul_i32_i24_e32 v34, 0x308, v32                          // 000000002A80: 0C4440FF 00000308
	v_add_u32_e32 v33, v34, v33                                // 000000002A88: 68424322
	v_lshlrev_b32_e32 v1, 2, v33                               // 000000002A8C: 24024282
	s_waitcnt vmcnt(37) lgkmcnt(0)                             // 000000002A90: BF8C8075
	s_barrier                                                  // 000000002A94: BF8A0000
	ds_read_b128 a[0:3], v1                                    // 000000002A98: DBFE0000 00000001
	ds_read_b128 a[4:7], v1 offset:64                          // 000000002AA0: DBFE0040 04000001
	ds_read_b128 a[8:11], v1 offset:128                        // 000000002AA8: DBFE0080 08000001
	ds_read_b128 a[12:15], v1 offset:192                       // 000000002AB0: DBFE00C0 0C000001
	ds_read_b128 a[16:19], v1 offset:256                       // 000000002AB8: DBFE0100 10000001
	ds_read_b128 a[20:23], v1 offset:320                       // 000000002AC0: DBFE0140 14000001
	ds_read_b128 a[24:27], v1 offset:384                       // 000000002AC8: DBFE0180 18000001
	ds_read_b128 a[28:31], v1 offset:448                       // 000000002AD0: DBFE01C0 1C000001
	ds_read_b128 a[32:35], v1 offset:512                       // 000000002AD8: DBFE0200 20000001
	v_mov_b32_e32 v92, 0                                       // 000000002AE0: 7EB80280
	v_mov_b32_e32 v93, 0                                       // 000000002AE4: 7EBA0280
	v_mov_b32_e32 v94, 0                                       // 000000002AE8: 7EBC0280
	v_mov_b32_e32 v95, 0                                       // 000000002AEC: 7EBE0280
	v_mov_b32_e32 v96, 0                                       // 000000002AF0: 7EC00280
	v_mov_b32_e32 v97, 0                                       // 000000002AF4: 7EC20280
	v_mov_b32_e32 v98, 0                                       // 000000002AF8: 7EC40280
	v_mov_b32_e32 v99, 0                                       // 000000002AFC: 7EC60280
	v_mov_b32_e32 v100, 0                                      // 000000002B00: 7EC80280
	v_mov_b32_e32 v101, 0                                      // 000000002B04: 7ECA0280
	v_mov_b32_e32 v102, 0                                      // 000000002B08: 7ECC0280
	v_mov_b32_e32 v103, 0                                      // 000000002B0C: 7ECE0280
	v_mov_b32_e32 v104, 0                                      // 000000002B10: 7ED00280
	v_mov_b32_e32 v105, 0                                      // 000000002B14: 7ED20280
	v_mov_b32_e32 v106, 0                                      // 000000002B18: 7ED40280
	v_mov_b32_e32 v107, 0                                      // 000000002B1C: 7ED60280
	v_mov_b32_e32 v108, 0                                      // 000000002B20: 7ED80280
	v_mov_b32_e32 v109, 0                                      // 000000002B24: 7EDA0280
	v_mov_b32_e32 v110, 0                                      // 000000002B28: 7EDC0280
	v_mov_b32_e32 v111, 0                                      // 000000002B2C: 7EDE0280
	v_mov_b32_e32 v112, 0                                      // 000000002B30: 7EE00280
	v_mov_b32_e32 v113, 0                                      // 000000002B34: 7EE20280
	v_mov_b32_e32 v114, 0                                      // 000000002B38: 7EE40280
	v_mov_b32_e32 v115, 0                                      // 000000002B3C: 7EE60280
	v_mov_b32_e32 v116, 0                                      // 000000002B40: 7EE80280
	v_mov_b32_e32 v117, 0                                      // 000000002B44: 7EEA0280
	v_mov_b32_e32 v118, 0                                      // 000000002B48: 7EEC0280
	v_mov_b32_e32 v119, 0                                      // 000000002B4C: 7EEE0280
	v_mov_b32_e32 v120, 0                                      // 000000002B50: 7EF00280
	v_mov_b32_e32 v121, 0                                      // 000000002B54: 7EF20280
	v_mov_b32_e32 v122, 0                                      // 000000002B58: 7EF40280
	v_mov_b32_e32 v123, 0                                      // 000000002B5C: 7EF60280
	v_lshrrev_b32_e32 v32, 4, v0                               // 000000002B60: 20400084
	v_mul_i32_i24_e32 v33, 0x100, v32                          // 000000002B64: 0C4240FF 00000100
	v_and_b32_e32 v32, 15, v0                                  // 000000002B6C: 2640008F
	v_mul_i32_i24_e32 v34, 1, v32                              // 000000002B70: 0C444081
	v_add_u32_e32 v20, v34, v33                                // 000000002B74: 68284322
	s_mul_i32 s56, s7, 32                                      // 000000002B78: 9238A007
	v_add_u32_e32 v20, s56, v20                                // 000000002B7C: 68282838
	v_lshlrev_b32_e32 v20, 2, v20                              // 000000002B80: 24282882
	v_lshrrev_b32_e32 v32, 4, v0                               // 000000002B84: 20400084
	v_mul_i32_i24_e32 v33, 0x90, v32                           // 000000002B88: 0C4240FF 00000090
	v_and_b32_e32 v34, 15, v0                                  // 000000002B90: 2644008F
	v_add_u32_e32 v21, v34, v33                                // 000000002B94: 682A4322
	s_and_b32 s56, 1, s7                                       // 000000002B98: 86380781
	s_mul_i32 s56, s56, 0x48                                   // 000000002B9C: 9238FF38 00000048
	s_lshr_b32 s57, s7, 1                                      // 000000002BA4: 8F398107
	s_mul_i32 s57, s57, 0x240                                  // 000000002BA8: 9239FF39 00000240
	s_add_u32 s56, s56, s57                                    // 000000002BB0: 80383938
	v_add_u32_e32 v21, s56, v21                                // 000000002BB4: 682A2A38
	v_lshlrev_b32_e32 v21, 2, v21                              // 000000002BB8: 242A2A82
	v_lshrrev_b32_e32 v32, 4, v0                               // 000000002BBC: 20400084
	v_mul_i32_i24_e32 v33, 4, v32                              // 000000002BC0: 0C424084
	v_and_b32_e32 v32, 15, v0                                  // 000000002BC4: 2640008F
	v_and_b32_e32 v34, 3, v32                                  // 000000002BC8: 26444083
	v_mul_i32_i24_e32 v34, 0x408, v34                          // 000000002BCC: 0C4444FF 00000408
	v_add_u32_e32 v22, v34, v33                                // 000000002BD4: 682C4322
	v_lshrrev_b32_e32 v32, 2, v32                              // 000000002BD8: 20404082
	v_mul_i32_i24_e32 v32, 0x80, v32                           // 000000002BDC: 0C4040FF 00000080
	v_add_u32_e32 v22, v32, v22                                // 000000002BE4: 682C2D20
	s_and_b32 s56, 1, s7                                       // 000000002BE8: 86380781
	s_mul_i32 s56, s56, 0x200                                  // 000000002BEC: 9238FF38 00000200
	v_add_u32_e32 v22, s56, v22                                // 000000002BF4: 682C2C38
	v_lshlrev_b32_e32 v22, 2, v22                              // 000000002BF8: 242C2C82
	v_lshrrev_b32_e32 v32, 4, v0                               // 000000002BFC: 20400084
	v_mul_i32_i24_e32 v33, 4, v32                              // 000000002C00: 0C424084
	v_and_b32_e32 v34, 15, v0                                  // 000000002C04: 2644008F
	v_mul_i32_i24_e32 v34, 18, v34                             // 000000002C08: 0C444492
	v_add_u32_e32 v23, v34, v33                                // 000000002C0C: 682E4322
	s_mul_i32 s56, s7, 0x120                                   // 000000002C10: 9238FF07 00000120
	v_add_u32_e32 v23, s56, v23                                // 000000002C18: 682E2E38
	v_lshlrev_b32_e32 v23, 2, v23                              // 000000002C1C: 242E2E82
	v_mul_u32_u24_dpp v40, v25, v10 row_newbcast:0 row_mask:0xf bank_mask:0xf// 000000002C20: 105014FA FF015019
	v_mul_u32_u24_dpp v41, v25, v10 row_newbcast:1 row_mask:0xf bank_mask:0xf// 000000002C28: 105214FA FF015119
	v_mul_u32_u24_dpp v42, v25, v10 row_newbcast:2 row_mask:0xf bank_mask:0xf// 000000002C30: 105414FA FF015219
	v_mul_u32_u24_dpp v43, v25, v10 row_newbcast:3 row_mask:0xf bank_mask:0xf// 000000002C38: 105614FA FF015319
	v_mul_u32_u24_dpp v44, v25, v10 row_newbcast:4 row_mask:0xf bank_mask:0xf// 000000002C40: 105814FA FF015419
	v_mul_u32_u24_dpp v45, v25, v10 row_newbcast:5 row_mask:0xf bank_mask:0xf// 000000002C48: 105A14FA FF015519
	v_mul_u32_u24_dpp v46, v25, v10 row_newbcast:6 row_mask:0xf bank_mask:0xf// 000000002C50: 105C14FA FF015619
	v_mul_u32_u24_dpp v47, v25, v10 row_newbcast:7 row_mask:0xf bank_mask:0xf// 000000002C58: 105E14FA FF015719
	v_mul_u32_u24_dpp v48, v25, v10 row_newbcast:8 row_mask:0xf bank_mask:0xf// 000000002C60: 106014FA FF015819
	v_mul_u32_u24_dpp v49, v25, v10 row_newbcast:9 row_mask:0xf bank_mask:0xf// 000000002C68: 106214FA FF015919
	v_mul_u32_u24_dpp v50, v25, v10 row_newbcast:10 row_mask:0xf bank_mask:0xf// 000000002C70: 106414FA FF015A19
	v_mul_u32_u24_dpp v51, v25, v10 row_newbcast:11 row_mask:0xf bank_mask:0xf// 000000002C78: 106614FA FF015B19
	v_mul_u32_u24_dpp v52, v25, v10 row_newbcast:12 row_mask:0xf bank_mask:0xf// 000000002C80: 106814FA FF015C19
	v_mul_u32_u24_dpp v53, v25, v10 row_newbcast:13 row_mask:0xf bank_mask:0xf// 000000002C88: 106A14FA FF015D19
	v_mul_u32_u24_dpp v54, v25, v10 row_newbcast:14 row_mask:0xf bank_mask:0xf// 000000002C90: 106C14FA FF015E19
	v_mul_u32_u24_dpp v55, v25, v10 row_newbcast:15 row_mask:0xf bank_mask:0xf// 000000002C98: 106E14FA FF015F19
	s_mov_b32 s56, m0                                          // 000000002CA0: BEB8007C
	s_set_gpr_idx_on s51, gpr_idx(SRC0)                        // 000000002CA4: BF110133
	v_add_u32_e32 v36, v40, v3                                 // 000000002CA8: 68480728
	v_add_u32_e32 v37, v41, v3                                 // 000000002CAC: 684A0729
	v_add_u32_e32 v38, v42, v3                                 // 000000002CB0: 684C072A
	v_add_u32_e32 v39, v43, v3                                 // 000000002CB4: 684E072B
	s_set_gpr_idx_off                                          // 000000002CB8: BF9C0000
	s_mov_b32 m0, s56                                          // 000000002CBC: BEFC0038
	v_add_u32_e32 v40, v40, v2                                 // 000000002CC0: 68500528
	v_add_u32_e32 v41, v41, v2                                 // 000000002CC4: 68520529
	v_add_u32_e32 v42, v42, v2                                 // 000000002CC8: 6854052A
	v_add_u32_e32 v43, v43, v2                                 // 000000002CCC: 6856052B
	v_add_u32_e32 v44, v44, v2                                 // 000000002CD0: 6858052C
	v_add_u32_e32 v45, v45, v2                                 // 000000002CD4: 685A052D
	v_add_u32_e32 v46, v46, v2                                 // 000000002CD8: 685C052E
	v_add_u32_e32 v47, v47, v2                                 // 000000002CDC: 685E052F
	v_add_u32_e32 v48, v48, v2                                 // 000000002CE0: 68600530
	v_add_u32_e32 v49, v49, v2                                 // 000000002CE4: 68620531
	v_add_u32_e32 v50, v50, v2                                 // 000000002CE8: 68640532
	v_add_u32_e32 v51, v51, v2                                 // 000000002CEC: 68660533
	v_add_u32_e32 v52, v52, v2                                 // 000000002CF0: 68680534
	v_add_u32_e32 v53, v53, v2                                 // 000000002CF4: 686A0535
	v_add_u32_e32 v54, v54, v2                                 // 000000002CF8: 686C0536
	v_add_u32_e32 v55, v55, v2                                 // 000000002CFC: 686E0537
	buffer_load_dword v25, v26, s[24:27], 0 offen              // 000000002D00: E0501000 8006191A
	v_add_u32_e32 v26, s73, v26                                // 000000002D08: 68343449
	buffer_load_dword v156, v40, s[20:23], 0 offen             // 000000002D0C: E0501000 80059C28
	buffer_load_dword v157, v40, s[20:23], 0 offen offset:64   // 000000002D14: E0501040 80059D28
	buffer_load_dword v158, v41, s[20:23], 0 offen             // 000000002D1C: E0501000 80059E29
	buffer_load_dword v159, v41, s[20:23], 0 offen offset:64   // 000000002D24: E0501040 80059F29
	buffer_load_dword v160, v42, s[20:23], 0 offen             // 000000002D2C: E0501000 8005A02A
	buffer_load_dword v161, v42, s[20:23], 0 offen offset:64   // 000000002D34: E0501040 8005A12A
	buffer_load_dword v162, v43, s[20:23], 0 offen             // 000000002D3C: E0501000 8005A22B
	buffer_load_dword v163, v43, s[20:23], 0 offen offset:64   // 000000002D44: E0501040 8005A32B
	buffer_load_dword v164, v44, s[20:23], 0 offen             // 000000002D4C: E0501000 8005A42C
	buffer_load_dword v165, v44, s[20:23], 0 offen offset:64   // 000000002D54: E0501040 8005A52C
	buffer_load_dword v166, v45, s[20:23], 0 offen             // 000000002D5C: E0501000 8005A62D
	buffer_load_dword v167, v45, s[20:23], 0 offen offset:64   // 000000002D64: E0501040 8005A72D
	buffer_load_dword v168, v46, s[20:23], 0 offen             // 000000002D6C: E0501000 8005A82E
	buffer_load_dword v169, v46, s[20:23], 0 offen offset:64   // 000000002D74: E0501040 8005A92E
	buffer_load_dword v170, v47, s[20:23], 0 offen             // 000000002D7C: E0501000 8005AA2F
	buffer_load_dword v171, v47, s[20:23], 0 offen offset:64   // 000000002D84: E0501040 8005AB2F
	buffer_load_dword v80, v36, s[20:23], 0 offen              // 000000002D8C: E0501000 80055024
	buffer_load_dword v81, v37, s[20:23], 0 offen              // 000000002D94: E0501000 80055125
	buffer_load_dword v82, v38, s[20:23], 0 offen              // 000000002D9C: E0501000 80055226
	buffer_load_dword v83, v39, s[20:23], 0 offen              // 000000002DA4: E0501000 80055327
	buffer_load_dword v172, v48, s[20:23], 0 offen             // 000000002DAC: E0501000 8005AC30
	buffer_load_dword v173, v48, s[20:23], 0 offen offset:64   // 000000002DB4: E0501040 8005AD30
	buffer_load_dword v174, v49, s[20:23], 0 offen             // 000000002DBC: E0501000 8005AE31
	buffer_load_dword v175, v49, s[20:23], 0 offen offset:64   // 000000002DC4: E0501040 8005AF31
	buffer_load_dword v176, v50, s[20:23], 0 offen             // 000000002DCC: E0501000 8005B032
	buffer_load_dword v177, v50, s[20:23], 0 offen offset:64   // 000000002DD4: E0501040 8005B132
	buffer_load_dword v178, v51, s[20:23], 0 offen             // 000000002DDC: E0501000 8005B233
	buffer_load_dword v179, v51, s[20:23], 0 offen offset:64   // 000000002DE4: E0501040 8005B333
	buffer_load_dword v180, v52, s[20:23], 0 offen             // 000000002DEC: E0501000 8005B434
	buffer_load_dword v181, v52, s[20:23], 0 offen offset:64   // 000000002DF4: E0501040 8005B534
	buffer_load_dword v182, v53, s[20:23], 0 offen             // 000000002DFC: E0501000 8005B635
	buffer_load_dword v183, v53, s[20:23], 0 offen offset:64   // 000000002E04: E0501040 8005B735
	buffer_load_dword v184, v54, s[20:23], 0 offen             // 000000002E0C: E0501000 8005B836
	buffer_load_dword v185, v54, s[20:23], 0 offen offset:64   // 000000002E14: E0501040 8005B936
	buffer_load_dword v186, v55, s[20:23], 0 offen             // 000000002E1C: E0501000 8005BA37
	buffer_load_dword v187, v55, s[20:23], 0 offen offset:64   // 000000002E24: E0501040 8005BB37
	s_waitcnt vmcnt(37) lgkmcnt(0)                             // 000000002E2C: BF8C8075
	s_barrier                                                  // 000000002E30: BF8A0000
	v_mul_u32_u24_dpp v40, v24, v10 row_newbcast:0 row_mask:0xf bank_mask:0xf// 000000002E34: 105014FA FF015018
	v_mul_u32_u24_dpp v41, v24, v10 row_newbcast:1 row_mask:0xf bank_mask:0xf// 000000002E3C: 105214FA FF015118
	v_mul_u32_u24_dpp v42, v24, v10 row_newbcast:2 row_mask:0xf bank_mask:0xf// 000000002E44: 105414FA FF015218
	v_mul_u32_u24_dpp v43, v24, v10 row_newbcast:3 row_mask:0xf bank_mask:0xf// 000000002E4C: 105614FA FF015318
	v_mul_u32_u24_dpp v44, v24, v10 row_newbcast:4 row_mask:0xf bank_mask:0xf// 000000002E54: 105814FA FF015418
	v_mul_u32_u24_dpp v45, v24, v10 row_newbcast:5 row_mask:0xf bank_mask:0xf// 000000002E5C: 105A14FA FF015518
	v_mul_u32_u24_dpp v46, v24, v10 row_newbcast:6 row_mask:0xf bank_mask:0xf// 000000002E64: 105C14FA FF015618
	v_mul_u32_u24_dpp v47, v24, v10 row_newbcast:7 row_mask:0xf bank_mask:0xf// 000000002E6C: 105E14FA FF015718
	v_mul_u32_u24_dpp v48, v24, v10 row_newbcast:8 row_mask:0xf bank_mask:0xf// 000000002E74: 106014FA FF015818
	v_mul_u32_u24_dpp v49, v24, v10 row_newbcast:9 row_mask:0xf bank_mask:0xf// 000000002E7C: 106214FA FF015918
	v_mul_u32_u24_dpp v50, v24, v10 row_newbcast:10 row_mask:0xf bank_mask:0xf// 000000002E84: 106414FA FF015A18
	v_mul_u32_u24_dpp v51, v24, v10 row_newbcast:11 row_mask:0xf bank_mask:0xf// 000000002E8C: 106614FA FF015B18
	v_mul_u32_u24_dpp v52, v24, v10 row_newbcast:12 row_mask:0xf bank_mask:0xf// 000000002E94: 106814FA FF015C18
	v_mul_u32_u24_dpp v53, v24, v10 row_newbcast:13 row_mask:0xf bank_mask:0xf// 000000002E9C: 106A14FA FF015D18
	v_mul_u32_u24_dpp v54, v24, v10 row_newbcast:14 row_mask:0xf bank_mask:0xf// 000000002EA4: 106C14FA FF015E18
	v_mul_u32_u24_dpp v55, v24, v10 row_newbcast:15 row_mask:0xf bank_mask:0xf// 000000002EAC: 106E14FA FF015F18
	s_mov_b32 s56, m0                                          // 000000002EB4: BEB8007C
	s_set_gpr_idx_on s51, gpr_idx(SRC0)                        // 000000002EB8: BF110133
	v_add_u32_e32 v36, v40, v3                                 // 000000002EBC: 68480728
	v_add_u32_e32 v37, v41, v3                                 // 000000002EC0: 684A0729
	v_add_u32_e32 v38, v42, v3                                 // 000000002EC4: 684C072A
	v_add_u32_e32 v39, v43, v3                                 // 000000002EC8: 684E072B
	s_set_gpr_idx_off                                          // 000000002ECC: BF9C0000
	s_mov_b32 m0, s56                                          // 000000002ED0: BEFC0038
	v_add_u32_e32 v40, v40, v2                                 // 000000002ED4: 68500528
	v_add_u32_e32 v41, v41, v2                                 // 000000002ED8: 68520529
	v_add_u32_e32 v42, v42, v2                                 // 000000002EDC: 6854052A
	v_add_u32_e32 v43, v43, v2                                 // 000000002EE0: 6856052B
	v_add_u32_e32 v44, v44, v2                                 // 000000002EE4: 6858052C
	v_add_u32_e32 v45, v45, v2                                 // 000000002EE8: 685A052D
	v_add_u32_e32 v46, v46, v2                                 // 000000002EEC: 685C052E
	v_add_u32_e32 v47, v47, v2                                 // 000000002EF0: 685E052F
	v_add_u32_e32 v48, v48, v2                                 // 000000002EF4: 68600530
	v_add_u32_e32 v49, v49, v2                                 // 000000002EF8: 68620531
	v_add_u32_e32 v50, v50, v2                                 // 000000002EFC: 68640532
	v_add_u32_e32 v51, v51, v2                                 // 000000002F00: 68660533
	v_add_u32_e32 v52, v52, v2                                 // 000000002F04: 68680534
	v_add_u32_e32 v53, v53, v2                                 // 000000002F08: 686A0535
	v_add_u32_e32 v54, v54, v2                                 // 000000002F0C: 686C0536
	v_add_u32_e32 v55, v55, v2                                 // 000000002F10: 686E0537
	ds_write_b32 v20, v124                                     // 000000002F14: D81A0000 00007C14
	ds_write_b32 v20, v125 offset:64                           // 000000002F1C: D81A0040 00007D14
	ds_write_b32 v20, v126 offset:4128                         // 000000002F24: D81A1020 00007E14
	ds_write_b32 v20, v127 offset:4192                         // 000000002F2C: D81A1060 00007F14
	ds_write_b32 v20, v128 offset:8256                         // 000000002F34: D81A2040 00008014
	ds_write_b32 v20, v129 offset:8320                         // 000000002F3C: D81A2080 00008114
	ds_write_b32 v20, v130 offset:12384                        // 000000002F44: D81A3060 00008214
	ds_write_b32 v20, v131 offset:12448                        // 000000002F4C: D81A30A0 00008314
	ds_write_b32 v20, v132 offset:512                          // 000000002F54: D81A0200 00008414
	ds_write_b32 v20, v133 offset:576                          // 000000002F5C: D81A0240 00008514
	ds_write_b32 v20, v134 offset:4640                         // 000000002F64: D81A1220 00008614
	ds_write_b32 v20, v135 offset:4704                         // 000000002F6C: D81A1260 00008714
	ds_write_b32 v20, v136 offset:8768                         // 000000002F74: D81A2240 00008814
	ds_write_b32 v20, v137 offset:8832                         // 000000002F7C: D81A2280 00008914
	ds_write_b32 v20, v138 offset:12896                        // 000000002F84: D81A3260 00008A14
	ds_write_b32 v20, v139 offset:12960                        // 000000002F8C: D81A32A0 00008B14
	ds_write_b32 v21, v72 offset:16512                         // 000000002F94: D81A4080 00004815
	ds_write_b32 v21, v73 offset:16584                         // 000000002F9C: D81A40C8 00004915
	ds_write_b32 v21, v74 offset:16656                         // 000000002FA4: D81A4110 00004A15
	ds_write_b32 v21, v75 offset:16728                         // 000000002FAC: D81A4158 00004B15
	s_waitcnt lgkmcnt(0)                                       // 000000002FB4: BF8CC07F
	s_barrier                                                  // 000000002FB8: BF8A0000
	s_cmp_lt_i32 s7, 2                                         // 000000002FBC: BF048207
	s_cbranch_scc0 label_0341                                  // 000000002FC0: BF840010
	ds_read_b128 a[72:75], v22                                 // 000000002FC4: DBFE0000 48000016
	ds_read_b128 a[76:79], v22 offset:64                       // 000000002FCC: DBFE0040 4C000016
	ds_read_b128 a[80:83], v22 offset:128                      // 000000002FD4: DBFE0080 50000016
	ds_read_b128 a[84:87], v22 offset:192                      // 000000002FDC: DBFE00C0 54000016
	ds_read_b128 a[88:91], v22 offset:256                      // 000000002FE4: DBFE0100 58000016
	ds_read_b128 a[92:95], v22 offset:320                      // 000000002FEC: DBFE0140 5C000016
	ds_read_b128 a[96:99], v22 offset:384                      // 000000002FF4: DBFE0180 60000016
	ds_read_b128 a[100:103], v22 offset:448                    // 000000002FFC: DBFE01C0 64000016

0000000000003004 <label_0341>:
	s_waitcnt lgkmcnt(0)                                       // 000000003004: BF8CC07F
	s_barrier                                                  // 000000003008: BF8A0000
	ds_write_b32 v20, v140                                     // 00000000300C: D81A0000 00008C14
	ds_write_b32 v20, v141 offset:64                           // 000000003014: D81A0040 00008D14
	ds_write_b32 v20, v142 offset:4128                         // 00000000301C: D81A1020 00008E14
	ds_write_b32 v20, v143 offset:4192                         // 000000003024: D81A1060 00008F14
	ds_write_b32 v20, v144 offset:8256                         // 00000000302C: D81A2040 00009014
	ds_write_b32 v20, v145 offset:8320                         // 000000003034: D81A2080 00009114
	ds_write_b32 v20, v146 offset:12384                        // 00000000303C: D81A3060 00009214
	ds_write_b32 v20, v147 offset:12448                        // 000000003044: D81A30A0 00009314
	ds_write_b32 v20, v148 offset:512                          // 00000000304C: D81A0200 00009414
	ds_write_b32 v20, v149 offset:576                          // 000000003054: D81A0240 00009514
	ds_write_b32 v20, v150 offset:4640                         // 00000000305C: D81A1220 00009614
	ds_write_b32 v20, v151 offset:4704                         // 000000003064: D81A1260 00009714
	ds_write_b32 v20, v152 offset:8768                         // 00000000306C: D81A2240 00009814
	ds_write_b32 v20, v153 offset:8832                         // 000000003074: D81A2280 00009914
	ds_write_b32 v20, v154 offset:12896                        // 00000000307C: D81A3260 00009A14
	ds_write_b32 v20, v155 offset:12960                        // 000000003084: D81A32A0 00009B14
	s_waitcnt lgkmcnt(0)                                       // 00000000308C: BF8CC07F
	s_barrier                                                  // 000000003090: BF8A0000
	ds_read_b64 a[104:105], v23 offset:16512                   // 000000003094: DAEC4080 68000017
	ds_read_b64 a[106:107], v23 offset:16520                   // 00000000309C: DAEC4088 6A000017
	s_cmp_lt_i32 s7, 2                                         // 0000000030A4: BF048207
	s_cbranch_scc1 label_037B                                  // 0000000030A8: BF850010
	ds_read_b128 a[72:75], v22                                 // 0000000030AC: DBFE0000 48000016
	ds_read_b128 a[76:79], v22 offset:64                       // 0000000030B4: DBFE0040 4C000016
	ds_read_b128 a[80:83], v22 offset:128                      // 0000000030BC: DBFE0080 50000016
	ds_read_b128 a[84:87], v22 offset:192                      // 0000000030C4: DBFE00C0 54000016
	ds_read_b128 a[88:91], v22 offset:256                      // 0000000030CC: DBFE0100 58000016
	ds_read_b128 a[92:95], v22 offset:320                      // 0000000030D4: DBFE0140 5C000016
	ds_read_b128 a[96:99], v22 offset:384                      // 0000000030DC: DBFE0180 60000016
	ds_read_b128 a[100:103], v22 offset:448                    // 0000000030E4: DBFE01C0 64000016

00000000000030ec <label_037B>:
	s_waitcnt lgkmcnt(0)                                       // 0000000030EC: BF8CC07F
	s_barrier                                                  // 0000000030F0: BF8A0000
	v_perm_b32 v32, v126, v124, s54                            // 0000000030F4: D1ED0020 00DAF97E
	v_perm_b32 v33, v126, v124, s55                            // 0000000030FC: D1ED0021 00DEF97E
	v_perm_b32 v34, v130, v128, s54                            // 000000003104: D1ED0022 00DB0182
	v_perm_b32 v35, v130, v128, s55                            // 00000000310C: D1ED0023 00DF0182
	v_perm_b32 v56, v34, v32, s53                              // 000000003114: D1ED0038 00D64122
	v_perm_b32 v57, v34, v32, s52                              // 00000000311C: D1ED0039 00D24122
	v_perm_b32 v58, v35, v33, s53                              // 000000003124: D1ED003A 00D64323
	v_perm_b32 v59, v35, v33, s52                              // 00000000312C: D1ED003B 00D24323
	v_accvgpr_write_b32 a108, v56                              // 000000003134: D3D9406C 18000138
	v_accvgpr_write_b32 a112, v57                              // 00000000313C: D3D94070 18000139
	v_accvgpr_write_b32 a116, v58                              // 000000003144: D3D94074 1800013A
	v_accvgpr_write_b32 a120, v59                              // 00000000314C: D3D94078 1800013B
	v_perm_b32 v32, v134, v132, s54                            // 000000003154: D1ED0020 00DB0986
	v_perm_b32 v33, v134, v132, s55                            // 00000000315C: D1ED0021 00DF0986
	v_perm_b32 v34, v138, v136, s54                            // 000000003164: D1ED0022 00DB118A
	v_perm_b32 v35, v138, v136, s55                            // 00000000316C: D1ED0023 00DF118A
	v_perm_b32 v56, v34, v32, s53                              // 000000003174: D1ED0038 00D64122
	v_perm_b32 v57, v34, v32, s52                              // 00000000317C: D1ED0039 00D24122
	v_perm_b32 v58, v35, v33, s53                              // 000000003184: D1ED003A 00D64323
	v_perm_b32 v59, v35, v33, s52                              // 00000000318C: D1ED003B 00D24323
	v_accvgpr_write_b32 a109, v56                              // 000000003194: D3D9406D 18000138
	v_accvgpr_write_b32 a113, v57                              // 00000000319C: D3D94071 18000139
	v_accvgpr_write_b32 a117, v58                              // 0000000031A4: D3D94075 1800013A
	v_accvgpr_write_b32 a121, v59                              // 0000000031AC: D3D94079 1800013B
	v_perm_b32 v32, v142, v140, s54                            // 0000000031B4: D1ED0020 00DB198E
	v_perm_b32 v33, v142, v140, s55                            // 0000000031BC: D1ED0021 00DF198E
	v_perm_b32 v34, v146, v144, s54                            // 0000000031C4: D1ED0022 00DB2192
	v_perm_b32 v35, v146, v144, s55                            // 0000000031CC: D1ED0023 00DF2192
	v_perm_b32 v56, v34, v32, s53                              // 0000000031D4: D1ED0038 00D64122
	v_perm_b32 v57, v34, v32, s52                              // 0000000031DC: D1ED0039 00D24122
	v_perm_b32 v58, v35, v33, s53                              // 0000000031E4: D1ED003A 00D64323
	v_perm_b32 v59, v35, v33, s52                              // 0000000031EC: D1ED003B 00D24323
	v_accvgpr_write_b32 a110, v56                              // 0000000031F4: D3D9406E 18000138
	v_accvgpr_write_b32 a114, v57                              // 0000000031FC: D3D94072 18000139
	v_accvgpr_write_b32 a118, v58                              // 000000003204: D3D94076 1800013A
	v_accvgpr_write_b32 a122, v59                              // 00000000320C: D3D9407A 1800013B
	v_perm_b32 v32, v150, v148, s54                            // 000000003214: D1ED0020 00DB2996
	v_perm_b32 v33, v150, v148, s55                            // 00000000321C: D1ED0021 00DF2996
	v_perm_b32 v34, v154, v152, s54                            // 000000003224: D1ED0022 00DB319A
	v_perm_b32 v35, v154, v152, s55                            // 00000000322C: D1ED0023 00DF319A
	v_perm_b32 v56, v34, v32, s53                              // 000000003234: D1ED0038 00D64122
	v_perm_b32 v57, v34, v32, s52                              // 00000000323C: D1ED0039 00D24122
	v_perm_b32 v58, v35, v33, s53                              // 000000003244: D1ED003A 00D64323
	v_perm_b32 v59, v35, v33, s52                              // 00000000324C: D1ED003B 00D24323
	v_accvgpr_write_b32 a111, v56                              // 000000003254: D3D9406F 18000138
	v_accvgpr_write_b32 a115, v57                              // 00000000325C: D3D94073 18000139
	v_accvgpr_write_b32 a119, v58                              // 000000003264: D3D94077 1800013A
	v_accvgpr_write_b32 a123, v59                              // 00000000326C: D3D9407B 1800013B
	v_perm_b32 v32, v127, v125, s54                            // 000000003274: D1ED0020 00DAFB7F
	v_perm_b32 v33, v127, v125, s55                            // 00000000327C: D1ED0021 00DEFB7F
	v_perm_b32 v34, v131, v129, s54                            // 000000003284: D1ED0022 00DB0383
	v_perm_b32 v35, v131, v129, s55                            // 00000000328C: D1ED0023 00DF0383
	v_perm_b32 v56, v34, v32, s53                              // 000000003294: D1ED0038 00D64122
	v_perm_b32 v57, v34, v32, s52                              // 00000000329C: D1ED0039 00D24122
	v_perm_b32 v58, v35, v33, s53                              // 0000000032A4: D1ED003A 00D64323
	v_perm_b32 v59, v35, v33, s52                              // 0000000032AC: D1ED003B 00D24323
	v_accvgpr_write_b32 a124, v56                              // 0000000032B4: D3D9407C 18000138
	v_accvgpr_write_b32 a128, v57                              // 0000000032BC: D3D94080 18000139
	v_accvgpr_write_b32 a132, v58                              // 0000000032C4: D3D94084 1800013A
	v_accvgpr_write_b32 a136, v59                              // 0000000032CC: D3D94088 1800013B
	v_perm_b32 v32, v135, v133, s54                            // 0000000032D4: D1ED0020 00DB0B87
	v_perm_b32 v33, v135, v133, s55                            // 0000000032DC: D1ED0021 00DF0B87
	v_perm_b32 v34, v139, v137, s54                            // 0000000032E4: D1ED0022 00DB138B
	v_perm_b32 v35, v139, v137, s55                            // 0000000032EC: D1ED0023 00DF138B
	v_perm_b32 v56, v34, v32, s53                              // 0000000032F4: D1ED0038 00D64122
	v_perm_b32 v57, v34, v32, s52                              // 0000000032FC: D1ED0039 00D24122
	v_perm_b32 v58, v35, v33, s53                              // 000000003304: D1ED003A 00D64323
	v_perm_b32 v59, v35, v33, s52                              // 00000000330C: D1ED003B 00D24323
	v_accvgpr_write_b32 a125, v56                              // 000000003314: D3D9407D 18000138
	v_accvgpr_write_b32 a129, v57                              // 00000000331C: D3D94081 18000139
	v_accvgpr_write_b32 a133, v58                              // 000000003324: D3D94085 1800013A
	v_accvgpr_write_b32 a137, v59                              // 00000000332C: D3D94089 1800013B
	v_perm_b32 v32, v143, v141, s54                            // 000000003334: D1ED0020 00DB1B8F
	v_perm_b32 v33, v143, v141, s55                            // 00000000333C: D1ED0021 00DF1B8F
	v_perm_b32 v34, v147, v145, s54                            // 000000003344: D1ED0022 00DB2393
	v_perm_b32 v35, v147, v145, s55                            // 00000000334C: D1ED0023 00DF2393
	v_perm_b32 v56, v34, v32, s53                              // 000000003354: D1ED0038 00D64122
	v_perm_b32 v57, v34, v32, s52                              // 00000000335C: D1ED0039 00D24122
	v_perm_b32 v58, v35, v33, s53                              // 000000003364: D1ED003A 00D64323
	v_perm_b32 v59, v35, v33, s52                              // 00000000336C: D1ED003B 00D24323
	v_accvgpr_write_b32 a126, v56                              // 000000003374: D3D9407E 18000138
	v_accvgpr_write_b32 a130, v57                              // 00000000337C: D3D94082 18000139
	v_accvgpr_write_b32 a134, v58                              // 000000003384: D3D94086 1800013A
	v_accvgpr_write_b32 a138, v59                              // 00000000338C: D3D9408A 1800013B
	v_perm_b32 v32, v151, v149, s54                            // 000000003394: D1ED0020 00DB2B97
	v_perm_b32 v33, v151, v149, s55                            // 00000000339C: D1ED0021 00DF2B97
	v_perm_b32 v34, v155, v153, s54                            // 0000000033A4: D1ED0022 00DB339B
	v_perm_b32 v35, v155, v153, s55                            // 0000000033AC: D1ED0023 00DF339B
	v_perm_b32 v56, v34, v32, s53                              // 0000000033B4: D1ED0038 00D64122
	v_perm_b32 v57, v34, v32, s52                              // 0000000033BC: D1ED0039 00D24122
	v_perm_b32 v58, v35, v33, s53                              // 0000000033C4: D1ED003A 00D64323
	v_perm_b32 v59, v35, v33, s52                              // 0000000033CC: D1ED003B 00D24323
	v_accvgpr_write_b32 a127, v56                              // 0000000033D4: D3D9407F 18000138
	v_accvgpr_write_b32 a131, v57                              // 0000000033DC: D3D94083 18000139
	v_accvgpr_write_b32 a135, v58                              // 0000000033E4: D3D94087 1800013A
	v_accvgpr_write_b32 a139, v59                              // 0000000033EC: D3D9408B 1800013B
	s_cmp_lt_u32 s71, 1                                        // 0000000033F4: BF0A8147
	s_cbranch_scc1 label_0E10                                  // 0000000033F8: BF8509D1
	s_cmp_lt_i32 s7, 2                                         // 0000000033FC: BF048207
	s_cbranch_scc0 label_0929                                  // 000000003400: BF8404E8

0000000000003404 <label_0441>:
	s_waitcnt vmcnt(16) lgkmcnt(0)                             // 000000003404: BF8C4070
	s_barrier                                                  // 000000003408: BF8A0000
	v_mfma_f32_16x16x32_fp8_fp8 v[88:91], a[72:73], a[0:1], 0  // 00000000340C: D3F30058 1A020148
	ds_write_b32 v20, v156                                     // 000000003414: D81A0000 00009C14
	ds_write_b32 v20, v157 offset:64                           // 00000000341C: D81A0040 00009D14
	v_mfma_f32_16x16x32_fp8_fp8 v[88:91], a[74:75], a[2:3], v[88:91]// 000000003424: D3F30058 1D62054A
	buffer_load_dword v124, v40, s[20:23], 0 offen             // 00000000342C: E0501000 80057C28
	buffer_load_dword v125, v40, s[20:23], 0 offen offset:64   // 000000003434: E0501040 80057D28
	v_mfma_f32_16x16x32_fp8_fp8 v[88:91], a[76:77], a[4:5], v[88:91]// 00000000343C: D3F30058 1D62094C
	ds_write_b32 v20, v158 offset:4128                         // 000000003444: D81A1020 00009E14
	ds_write_b32 v20, v159 offset:4192                         // 00000000344C: D81A1060 00009F14
	v_mfma_f32_16x16x32_fp8_fp8 v[88:91], a[78:79], a[6:7], v[88:91]// 000000003454: D3F30058 1D620D4E
	buffer_load_dword v24, v26, s[24:27], 0 offen              // 00000000345C: E0501000 8006181A
	v_mfma_f32_16x16x32_fp8_fp8 v[88:91], a[80:81], a[8:9], v[88:91]// 000000003464: D3F30058 1D621150
	ds_write_b32 v20, v160 offset:8256                         // 00000000346C: D81A2040 0000A014
	ds_write_b32 v20, v161 offset:8320                         // 000000003474: D81A2080 0000A114
	v_mfma_f32_16x16x32_fp8_fp8 v[88:91], a[82:83], a[10:11], v[88:91]// 00000000347C: D3F30058 1D621552
	buffer_load_dword v126, v41, s[20:23], 0 offen             // 000000003484: E0501000 80057E29
	buffer_load_dword v127, v41, s[20:23], 0 offen offset:64   // 00000000348C: E0501040 80057F29
	v_mfma_f32_16x16x32_fp8_fp8 v[88:91], a[84:85], a[12:13], v[88:91]// 000000003494: D3F30058 1D621954
	ds_write_b32 v20, v162 offset:12384                        // 00000000349C: D81A3060 0000A214
	ds_write_b32 v20, v163 offset:12448                        // 0000000034A4: D81A30A0 0000A314
	v_mfma_f32_16x16x32_fp8_fp8 v[88:91], a[86:87], a[14:15], v[88:91]// 0000000034AC: D3F30058 1D621D56
	v_mfma_f32_16x16x32_fp8_fp8 v[88:91], a[88:89], a[16:17], v[88:91]// 0000000034B4: D3F30058 1D622158
	ds_write_b32 v20, v164 offset:512                          // 0000000034BC: D81A0200 0000A414
	ds_write_b32 v20, v165 offset:576                          // 0000000034C4: D81A0240 0000A514
	v_mfma_f32_16x16x32_fp8_fp8 v[88:91], a[90:91], a[18:19], v[88:91]// 0000000034CC: D3F30058 1D62255A
	buffer_load_dword v128, v42, s[20:23], 0 offen             // 0000000034D4: E0501000 8005802A
	buffer_load_dword v129, v42, s[20:23], 0 offen offset:64   // 0000000034DC: E0501040 8005812A
	v_mfma_f32_16x16x32_fp8_fp8 v[88:91], a[92:93], a[20:21], v[88:91]// 0000000034E4: D3F30058 1D62295C
	ds_write_b32 v20, v166 offset:4640                         // 0000000034EC: D81A1220 0000A614
	ds_write_b32 v20, v167 offset:4704                         // 0000000034F4: D81A1260 0000A714
	v_mfma_f32_16x16x32_fp8_fp8 v[88:91], a[94:95], a[22:23], v[88:91]// 0000000034FC: D3F30058 1D622D5E
	v_mfma_f32_16x16x32_fp8_fp8 v[88:91], a[96:97], a[24:25], v[88:91]// 000000003504: D3F30058 1D623160
	ds_write_b32 v20, v168 offset:8768                         // 00000000350C: D81A2240 0000A814
	ds_write_b32 v20, v169 offset:8832                         // 000000003514: D81A2280 0000A914
	v_mfma_f32_16x16x32_fp8_fp8 v[88:91], a[98:99], a[26:27], v[88:91]// 00000000351C: D3F30058 1D623562
	buffer_load_dword v130, v43, s[20:23], 0 offen             // 000000003524: E0501000 8005822B
	buffer_load_dword v131, v43, s[20:23], 0 offen offset:64   // 00000000352C: E0501040 8005832B
	v_mfma_f32_16x16x32_fp8_fp8 v[88:91], a[100:101], a[28:29], v[88:91]// 000000003534: D3F30058 1D623964
	ds_write_b32 v20, v170 offset:12896                        // 00000000353C: D81A3260 0000AA14
	ds_write_b32 v20, v171 offset:12960                        // 000000003544: D81A32A0 0000AB14
	v_mfma_f32_16x16x32_fp8_fp8 v[88:91], a[102:103], a[30:31], v[88:91]// 00000000354C: D3F30058 1D623D66
	v_mfma_f32_16x16x32_fp8_fp8 v[88:91], a[104:105], a[32:33], v[88:91]// 000000003554: D3F30058 1D624168
	v_mfma_f32_16x16x32_fp8_fp8 v[88:91], a[106:107], a[34:35], v[88:91]// 00000000355C: D3F30058 1D62456A
	buffer_load_dword v132, v44, s[20:23], 0 offen             // 000000003564: E0501000 8005842C
	buffer_load_dword v133, v44, s[20:23], 0 offen offset:64   // 00000000356C: E0501040 8005852C
	buffer_load_dword v134, v45, s[20:23], 0 offen             // 000000003574: E0501000 8005862D
	buffer_load_dword v135, v45, s[20:23], 0 offen offset:64   // 00000000357C: E0501040 8005872D
	buffer_load_dword v136, v46, s[20:23], 0 offen             // 000000003584: E0501000 8005882E
	buffer_load_dword v137, v46, s[20:23], 0 offen offset:64   // 00000000358C: E0501040 8005892E
	buffer_load_dword v138, v47, s[20:23], 0 offen             // 000000003594: E0501000 80058A2F
	buffer_load_dword v139, v47, s[20:23], 0 offen offset:64   // 00000000359C: E0501040 80058B2F
	ds_write_b32 v21, v80 offset:16512                         // 0000000035A4: D81A4080 00005015
	ds_write_b32 v21, v81 offset:16584                         // 0000000035AC: D81A40C8 00005115
	ds_write_b32 v21, v82 offset:16656                         // 0000000035B4: D81A4110 00005215
	ds_write_b32 v21, v83 offset:16728                         // 0000000035BC: D81A4158 00005315
	s_waitcnt lgkmcnt(4)                                       // 0000000035C4: BF8CC47F
	s_barrier                                                  // 0000000035C8: BF8A0000
	ds_read_b128 a[72:75], v22                                 // 0000000035CC: DBFE0000 48000016
	ds_read_b128 a[76:79], v22 offset:64                       // 0000000035D4: DBFE0040 4C000016
	ds_read_b128 a[80:83], v22 offset:128                      // 0000000035DC: DBFE0080 50000016
	ds_read_b128 a[84:87], v22 offset:192                      // 0000000035E4: DBFE00C0 54000016
	ds_read_b128 a[88:91], v22 offset:256                      // 0000000035EC: DBFE0100 58000016
	ds_read_b128 a[92:95], v22 offset:320                      // 0000000035F4: DBFE0140 5C000016
	ds_read_b128 a[96:99], v22 offset:384                      // 0000000035FC: DBFE0180 60000016
	ds_read_b128 a[100:103], v22 offset:448                    // 000000003604: DBFE01C0 64000016
	v_add_u32_e32 v26, s73, v26                                // 00000000360C: 68343449
	buffer_load_dword v72, v36, s[20:23], 0 offen              // 000000003610: E0501000 80054824
	buffer_load_dword v73, v37, s[20:23], 0 offen              // 000000003618: E0501000 80054925
	v_mov_b32_e32 v8, v88                                      // 000000003620: 7E100358
	v_max3_f32 v8, v88, v89, v8                                // 000000003624: D1D30008 0422B358
	v_max3_f32 v8, v90, v91, v8                                // 00000000362C: D1D30008 0422B75A
	ds_write_b32 v5, v8 offset:21120                           // 000000003634: D81A5280 00000805
	buffer_load_dword v74, v38, s[20:23], 0 offen              // 00000000363C: E0501000 80054A26
	buffer_load_dword v75, v39, s[20:23], 0 offen              // 000000003644: E0501000 80054B27
	buffer_load_dword v140, v48, s[20:23], 0 offen             // 00000000364C: E0501000 80058C30
	buffer_load_dword v141, v48, s[20:23], 0 offen offset:64   // 000000003654: E0501040 80058D30
	s_waitcnt lgkmcnt(0)                                       // 00000000365C: BF8CC07F
	s_barrier                                                  // 000000003660: BF8A0000
	ds_read_b32 v56, v4 offset:21120                           // 000000003664: D86C5280 38000004
	ds_read_b32 v57, v4 offset:21184                           // 00000000366C: D86C52C0 39000004
	ds_read_b32 v58, v4 offset:21248                           // 000000003674: D86C5300 3A000004
	ds_read_b32 v59, v4 offset:21312                           // 00000000367C: D86C5340 3B000004
	ds_read_b32 v60, v4 offset:21376                           // 000000003684: D86C5380 3C000004
	ds_read_b32 v61, v4 offset:21440                           // 00000000368C: D86C53C0 3D000004
	ds_read_b32 v62, v4 offset:21504                           // 000000003694: D86C5400 3E000004
	ds_read_b32 v63, v4 offset:21568                           // 00000000369C: D86C5440 3F000004
	ds_read_b32 v64, v4 offset:21632                           // 0000000036A4: D86C5480 40000004
	buffer_load_dword v142, v49, s[20:23], 0 offen             // 0000000036AC: E0501000 80058E31
	buffer_load_dword v143, v49, s[20:23], 0 offen offset:64   // 0000000036B4: E0501040 80058F31
	ds_read_b32 v65, v4 offset:21696                           // 0000000036BC: D86C54C0 41000004
	ds_read_b32 v66, v4 offset:21760                           // 0000000036C4: D86C5500 42000004
	ds_read_b32 v67, v4 offset:21824                           // 0000000036CC: D86C5540 43000004
	ds_read_b32 v68, v4 offset:21888                           // 0000000036D4: D86C5580 44000004
	ds_read_b32 v69, v4 offset:21952                           // 0000000036DC: D86C55C0 45000004
	ds_read_b32 v70, v4 offset:22016                           // 0000000036E4: D86C5600 46000004
	ds_read_b32 v71, v4 offset:22080                           // 0000000036EC: D86C5640 47000004
	buffer_load_dword v144, v50, s[20:23], 0 offen             // 0000000036F4: E0501000 80059032
	buffer_load_dword v145, v50, s[20:23], 0 offen offset:64   // 0000000036FC: E0501040 80059132
	s_waitcnt lgkmcnt(0)                                       // 000000003704: BF8CC07F
	v_max3_f32 v8, v56, v57, v8                                // 000000003708: D1D30008 04227338
	v_max3_f32 v8, v58, v59, v8                                // 000000003710: D1D30008 0422773A
	v_max3_f32 v8, v60, v61, v8                                // 000000003718: D1D30008 04227B3C
	v_max3_f32 v8, v62, v63, v8                                // 000000003720: D1D30008 04227F3E
	v_max3_f32 v8, v64, v65, v8                                // 000000003728: D1D30008 04228340
	v_max3_f32 v8, v66, v67, v8                                // 000000003730: D1D30008 04228742
	v_max3_f32 v8, v68, v69, v8                                // 000000003738: D1D30008 04228B44
	v_max3_f32 v8, v70, v71, v8                                // 000000003740: D1D30008 04228F46
	buffer_load_dword v146, v51, s[20:23], 0 offen             // 000000003748: E0501000 80059233
	buffer_load_dword v147, v51, s[20:23], 0 offen offset:64   // 000000003750: E0501040 80059333
	v_cmp_eq_u32_e64 s[34:35], v11, v12                        // 000000003758: D0CA0022 0002190B
	v_max_f32_e32 v13, v8, v12                                 // 000000003760: 161A1908
	v_sub_f32_e32 v18, v12, v13                                // 000000003764: 04241B0C
	v_cndmask_b32_e64 v18, v18, 0, s[34:35]                    // 000000003768: D1000012 00890112
	v_mov_b32_e32 v12, v13                                     // 000000003770: 7E18030D
	v_mul_f32_e32 v9, s5, v13                                  // 000000003774: 0A121A05
	v_mul_f32_e32 v18, s5, v18                                 // 000000003778: 0A242405
	v_exp_f32_e32 v18, v18                                     // 00000000377C: 7E244112
	buffer_load_dword v148, v52, s[20:23], 0 offen             // 000000003780: E0501000 80059434
	buffer_load_dword v149, v52, s[20:23], 0 offen offset:64   // 000000003788: E0501040 80059534
	v_fma_f32 v88, v88, s5, -v9                                // 000000003790: D1CB0058 84240B58
	v_fma_f32 v89, v89, s5, -v9                                // 000000003798: D1CB0059 84240B59
	v_fma_f32 v90, v90, s5, -v9                                // 0000000037A0: D1CB005A 84240B5A
	v_fma_f32 v91, v91, s5, -v9                                // 0000000037A8: D1CB005B 84240B5B
	v_exp_f32_e32 v88, v88                                     // 0000000037B0: 7EB04158
	v_exp_f32_e32 v89, v89                                     // 0000000037B4: 7EB24159
	v_exp_f32_e32 v90, v90                                     // 0000000037B8: 7EB4415A
	v_exp_f32_e32 v91, v91                                     // 0000000037BC: 7EB6415B
	buffer_load_dword v150, v53, s[20:23], 0 offen             // 0000000037C0: E0501000 80059635
	buffer_load_dword v151, v53, s[20:23], 0 offen offset:64   // 0000000037C8: E0501040 80059735
	v_mul_f32_e32 v14, v18, v14                                // 0000000037D0: 0A1C1D12
	v_mov_b32_e32 v15, v88                                     // 0000000037D4: 7E1E0358
	v_add_f32_e32 v15, v89, v15                                // 0000000037D8: 021E1F59
	v_add_f32_e32 v15, v90, v15                                // 0000000037DC: 021E1F5A
	v_add_f32_e32 v15, v91, v15                                // 0000000037E0: 021E1F5B
	v_add_f32_e32 v14, v15, v14                                // 0000000037E4: 021C1D0F
	buffer_load_dword v152, v54, s[20:23], 0 offen             // 0000000037E8: E0501000 80059836
	buffer_load_dword v153, v54, s[20:23], 0 offen offset:64   // 0000000037F0: E0501040 80059936
	v_cvt_pk_fp8_f32 v88, v88, v89                             // 0000000037F8: D2A20058 0002B358
	v_cvt_pk_fp8_f32 v88, v90, v91 op_sel:[0,0,1]              // 000000003800: D2A24058 0002B75A
	ds_write_b32 v7, v88                                       // 000000003808: D81A0000 00005807
	v_mov_b32_e32 v32, v18                                     // 000000003810: 7E400312
	v_mov_b32_e32 v33, v18                                     // 000000003814: 7E420312
	v_pk_mul_f32 v[92:93], v[32:33], v[92:93]                  // 000000003818: D3B1405C 1802B920
	v_pk_mul_f32 v[94:95], v[32:33], v[94:95]                  // 000000003820: D3B1405E 1802BD20
	v_pk_mul_f32 v[96:97], v[32:33], v[96:97]                  // 000000003828: D3B14060 1802C120
	v_pk_mul_f32 v[98:99], v[32:33], v[98:99]                  // 000000003830: D3B14062 1802C520
	v_pk_mul_f32 v[100:101], v[32:33], v[100:101]              // 000000003838: D3B14064 1802C920
	v_pk_mul_f32 v[102:103], v[32:33], v[102:103]              // 000000003840: D3B14066 1802CD20
	v_pk_mul_f32 v[104:105], v[32:33], v[104:105]              // 000000003848: D3B14068 1802D120
	v_pk_mul_f32 v[106:107], v[32:33], v[106:107]              // 000000003850: D3B1406A 1802D520
	v_pk_mul_f32 v[108:109], v[32:33], v[108:109]              // 000000003858: D3B1406C 1802D920
	v_pk_mul_f32 v[110:111], v[32:33], v[110:111]              // 000000003860: D3B1406E 1802DD20
	v_pk_mul_f32 v[112:113], v[32:33], v[112:113]              // 000000003868: D3B14070 1802E120
	v_pk_mul_f32 v[114:115], v[32:33], v[114:115]              // 000000003870: D3B14072 1802E520
	v_pk_mul_f32 v[116:117], v[32:33], v[116:117]              // 000000003878: D3B14074 1802E920
	v_pk_mul_f32 v[118:119], v[32:33], v[118:119]              // 000000003880: D3B14076 1802ED20
	v_pk_mul_f32 v[120:121], v[32:33], v[120:121]              // 000000003888: D3B14078 1802F120
	v_pk_mul_f32 v[122:123], v[32:33], v[122:123]              // 000000003890: D3B1407A 1802F520
	buffer_load_dword v154, v55, s[20:23], 0 offen             // 000000003898: E0501000 80059A37
	buffer_load_dword v155, v55, s[20:23], 0 offen offset:64   // 0000000038A0: E0501040 80059B37
	s_waitcnt lgkmcnt(0)                                       // 0000000038A8: BF8CC07F
	s_barrier                                                  // 0000000038AC: BF8A0000
	ds_read_b64 v[88:89], v6                                   // 0000000038B0: D8EC0000 58000006
	ds_read_b64 v[90:91], v6 offset:32                         // 0000000038B8: D8EC0020 5A000006
	v_mul_u32_u24_dpp v40, v25, v10 row_newbcast:0 row_mask:0xf bank_mask:0xf// 0000000038C0: 105014FA FF015019
	v_mul_u32_u24_dpp v41, v25, v10 row_newbcast:1 row_mask:0xf bank_mask:0xf// 0000000038C8: 105214FA FF015119
	v_mul_u32_u24_dpp v42, v25, v10 row_newbcast:2 row_mask:0xf bank_mask:0xf// 0000000038D0: 105414FA FF015219
	v_mul_u32_u24_dpp v43, v25, v10 row_newbcast:3 row_mask:0xf bank_mask:0xf// 0000000038D8: 105614FA FF015319
	v_mul_u32_u24_dpp v44, v25, v10 row_newbcast:4 row_mask:0xf bank_mask:0xf// 0000000038E0: 105814FA FF015419
	v_mul_u32_u24_dpp v45, v25, v10 row_newbcast:5 row_mask:0xf bank_mask:0xf// 0000000038E8: 105A14FA FF015519
	v_mul_u32_u24_dpp v46, v25, v10 row_newbcast:6 row_mask:0xf bank_mask:0xf// 0000000038F0: 105C14FA FF015619
	v_mul_u32_u24_dpp v47, v25, v10 row_newbcast:7 row_mask:0xf bank_mask:0xf// 0000000038F8: 105E14FA FF015719
	v_mul_u32_u24_dpp v48, v25, v10 row_newbcast:8 row_mask:0xf bank_mask:0xf// 000000003900: 106014FA FF015819
	v_mul_u32_u24_dpp v49, v25, v10 row_newbcast:9 row_mask:0xf bank_mask:0xf// 000000003908: 106214FA FF015919
	v_mul_u32_u24_dpp v50, v25, v10 row_newbcast:10 row_mask:0xf bank_mask:0xf// 000000003910: 106414FA FF015A19
	v_mul_u32_u24_dpp v51, v25, v10 row_newbcast:11 row_mask:0xf bank_mask:0xf// 000000003918: 106614FA FF015B19
	v_mul_u32_u24_dpp v52, v25, v10 row_newbcast:12 row_mask:0xf bank_mask:0xf// 000000003920: 106814FA FF015C19
	v_mul_u32_u24_dpp v53, v25, v10 row_newbcast:13 row_mask:0xf bank_mask:0xf// 000000003928: 106A14FA FF015D19
	v_mul_u32_u24_dpp v54, v25, v10 row_newbcast:14 row_mask:0xf bank_mask:0xf// 000000003930: 106C14FA FF015E19
	v_mul_u32_u24_dpp v55, v25, v10 row_newbcast:15 row_mask:0xf bank_mask:0xf// 000000003938: 106E14FA FF015F19
	s_mov_b32 s56, m0                                          // 000000003940: BEB8007C
	s_set_gpr_idx_on s51, gpr_idx(SRC0)                        // 000000003944: BF110133
	v_add_u32_e32 v36, v40, v3                                 // 000000003948: 68480728
	v_add_u32_e32 v37, v41, v3                                 // 00000000394C: 684A0729
	v_add_u32_e32 v38, v42, v3                                 // 000000003950: 684C072A
	v_add_u32_e32 v39, v43, v3                                 // 000000003954: 684E072B
	s_set_gpr_idx_off                                          // 000000003958: BF9C0000
	s_mov_b32 m0, s56                                          // 00000000395C: BEFC0038
	v_add_u32_e32 v40, v40, v2                                 // 000000003960: 68500528
	v_add_u32_e32 v41, v41, v2                                 // 000000003964: 68520529
	v_add_u32_e32 v42, v42, v2                                 // 000000003968: 6854052A
	v_add_u32_e32 v43, v43, v2                                 // 00000000396C: 6856052B
	v_add_u32_e32 v44, v44, v2                                 // 000000003970: 6858052C
	v_add_u32_e32 v45, v45, v2                                 // 000000003974: 685A052D
	v_add_u32_e32 v46, v46, v2                                 // 000000003978: 685C052E
	v_add_u32_e32 v47, v47, v2                                 // 00000000397C: 685E052F
	v_add_u32_e32 v48, v48, v2                                 // 000000003980: 68600530
	v_add_u32_e32 v49, v49, v2                                 // 000000003984: 68620531
	;; [unrolled: 1-line block ×3, first 2 shown]
	v_add_u32_e32 v51, v51, v2                                 // 00000000398C: 68660533
	v_add_u32_e32 v52, v52, v2                                 // 000000003990: 68680534
	v_add_u32_e32 v53, v53, v2                                 // 000000003994: 686A0535
	v_add_u32_e32 v54, v54, v2                                 // 000000003998: 686C0536
	v_add_u32_e32 v55, v55, v2                                 // 00000000399C: 686E0537
	s_waitcnt lgkmcnt(0)                                       // 0000000039A0: BF8CC07F
	s_waitcnt vmcnt(37)                                        // 0000000039A4: BF8C8F75
	v_mfma_f32_16x16x32_fp8_fp8 v[92:95], a[108:109], v[88:89], v[92:95]// 0000000039A8: D3F3005C 0D72B16C
	v_mfma_f32_16x16x32_fp8_fp8 v[92:95], a[110:111], v[90:91], v[92:95]// 0000000039B0: D3F3005C 0D72B56E
	ds_write_b32 v20, v172                                     // 0000000039B8: D81A0000 0000AC14
	ds_write_b32 v20, v173 offset:64                           // 0000000039C0: D81A0040 0000AD14
	v_mfma_f32_16x16x32_fp8_fp8 v[96:99], a[112:113], v[88:89], v[96:99]// 0000000039C8: D3F30060 0D82B170
	v_mfma_f32_16x16x32_fp8_fp8 v[96:99], a[114:115], v[90:91], v[96:99]// 0000000039D0: D3F30060 0D82B572
	ds_write_b32 v20, v174 offset:4128                         // 0000000039D8: D81A1020 0000AE14
	ds_write_b32 v20, v175 offset:4192                         // 0000000039E0: D81A1060 0000AF14
	v_mfma_f32_16x16x32_fp8_fp8 v[100:103], a[116:117], v[88:89], v[100:103]// 0000000039E8: D3F30064 0D92B174
	v_mfma_f32_16x16x32_fp8_fp8 v[100:103], a[118:119], v[90:91], v[100:103]// 0000000039F0: D3F30064 0D92B576
	ds_write_b32 v20, v176 offset:8256                         // 0000000039F8: D81A2040 0000B014
	ds_write_b32 v20, v177 offset:8320                         // 000000003A00: D81A2080 0000B114
	v_mfma_f32_16x16x32_fp8_fp8 v[104:107], a[120:121], v[88:89], v[104:107]// 000000003A08: D3F30068 0DA2B178
	v_mfma_f32_16x16x32_fp8_fp8 v[104:107], a[122:123], v[90:91], v[104:107]// 000000003A10: D3F30068 0DA2B57A
	ds_write_b32 v20, v178 offset:12384                        // 000000003A18: D81A3060 0000B214
	ds_write_b32 v20, v179 offset:12448                        // 000000003A20: D81A30A0 0000B314
	v_mfma_f32_16x16x32_fp8_fp8 v[108:111], a[124:125], v[88:89], v[108:111]// 000000003A28: D3F3006C 0DB2B17C
	v_mfma_f32_16x16x32_fp8_fp8 v[108:111], a[126:127], v[90:91], v[108:111]// 000000003A30: D3F3006C 0DB2B57E
	ds_write_b32 v20, v180 offset:512                          // 000000003A38: D81A0200 0000B414
	ds_write_b32 v20, v181 offset:576                          // 000000003A40: D81A0240 0000B514
	v_mfma_f32_16x16x32_fp8_fp8 v[112:115], a[128:129], v[88:89], v[112:115]// 000000003A48: D3F30070 0DC2B180
	v_mfma_f32_16x16x32_fp8_fp8 v[112:115], a[130:131], v[90:91], v[112:115]// 000000003A50: D3F30070 0DC2B582
	ds_write_b32 v20, v182 offset:4640                         // 000000003A58: D81A1220 0000B614
	ds_write_b32 v20, v183 offset:4704                         // 000000003A60: D81A1260 0000B714
	v_mfma_f32_16x16x32_fp8_fp8 v[116:119], a[132:133], v[88:89], v[116:119]// 000000003A68: D3F30074 0DD2B184
	v_mfma_f32_16x16x32_fp8_fp8 v[116:119], a[134:135], v[90:91], v[116:119]// 000000003A70: D3F30074 0DD2B586
	ds_write_b32 v20, v184 offset:8768                         // 000000003A78: D81A2240 0000B814
	ds_write_b32 v20, v185 offset:8832                         // 000000003A80: D81A2280 0000B914
	v_mfma_f32_16x16x32_fp8_fp8 v[120:123], a[136:137], v[88:89], v[120:123]// 000000003A88: D3F30078 0DE2B188
	v_mfma_f32_16x16x32_fp8_fp8 v[120:123], a[138:139], v[90:91], v[120:123]// 000000003A90: D3F30078 0DE2B58A
	ds_write_b32 v20, v186 offset:12896                        // 000000003A98: D81A3260 0000BA14
	ds_write_b32 v20, v187 offset:12960                        // 000000003AA0: D81A32A0 0000BB14
	ds_read_b64 a[104:105], v23 offset:16512                   // 000000003AA8: DAEC4080 68000017
	ds_read_b64 a[106:107], v23 offset:16520                   // 000000003AB0: DAEC4088 6A000017
	s_waitcnt lgkmcnt(4)                                       // 000000003AB8: BF8CC47F
	s_barrier                                                  // 000000003ABC: BF8A0000
	v_perm_b32 v32, v158, v156, s54                            // 000000003AC0: D1ED0020 00DB399E
	v_perm_b32 v33, v158, v156, s55                            // 000000003AC8: D1ED0021 00DF399E
	v_perm_b32 v34, v162, v160, s54                            // 000000003AD0: D1ED0022 00DB41A2
	v_perm_b32 v35, v162, v160, s55                            // 000000003AD8: D1ED0023 00DF41A2
	v_perm_b32 v56, v34, v32, s53                              // 000000003AE0: D1ED0038 00D64122
	v_perm_b32 v57, v34, v32, s52                              // 000000003AE8: D1ED0039 00D24122
	v_perm_b32 v58, v35, v33, s53                              // 000000003AF0: D1ED003A 00D64323
	v_perm_b32 v59, v35, v33, s52                              // 000000003AF8: D1ED003B 00D24323
	v_accvgpr_write_b32 a108, v56                              // 000000003B00: D3D9406C 18000138
	v_accvgpr_write_b32 a112, v57                              // 000000003B08: D3D94070 18000139
	v_accvgpr_write_b32 a116, v58                              // 000000003B10: D3D94074 1800013A
	v_accvgpr_write_b32 a120, v59                              // 000000003B18: D3D94078 1800013B
	v_perm_b32 v32, v166, v164, s54                            // 000000003B20: D1ED0020 00DB49A6
	v_perm_b32 v33, v166, v164, s55                            // 000000003B28: D1ED0021 00DF49A6
	v_perm_b32 v34, v170, v168, s54                            // 000000003B30: D1ED0022 00DB51AA
	v_perm_b32 v35, v170, v168, s55                            // 000000003B38: D1ED0023 00DF51AA
	v_perm_b32 v56, v34, v32, s53                              // 000000003B40: D1ED0038 00D64122
	v_perm_b32 v57, v34, v32, s52                              // 000000003B48: D1ED0039 00D24122
	v_perm_b32 v58, v35, v33, s53                              // 000000003B50: D1ED003A 00D64323
	v_perm_b32 v59, v35, v33, s52                              // 000000003B58: D1ED003B 00D24323
	v_accvgpr_write_b32 a109, v56                              // 000000003B60: D3D9406D 18000138
	v_accvgpr_write_b32 a113, v57                              // 000000003B68: D3D94071 18000139
	v_accvgpr_write_b32 a117, v58                              // 000000003B70: D3D94075 1800013A
	v_accvgpr_write_b32 a121, v59                              // 000000003B78: D3D94079 1800013B
	v_perm_b32 v32, v174, v172, s54                            // 000000003B80: D1ED0020 00DB59AE
	v_perm_b32 v33, v174, v172, s55                            // 000000003B88: D1ED0021 00DF59AE
	v_perm_b32 v34, v178, v176, s54                            // 000000003B90: D1ED0022 00DB61B2
	v_perm_b32 v35, v178, v176, s55                            // 000000003B98: D1ED0023 00DF61B2
	v_perm_b32 v56, v34, v32, s53                              // 000000003BA0: D1ED0038 00D64122
	v_perm_b32 v57, v34, v32, s52                              // 000000003BA8: D1ED0039 00D24122
	v_perm_b32 v58, v35, v33, s53                              // 000000003BB0: D1ED003A 00D64323
	v_perm_b32 v59, v35, v33, s52                              // 000000003BB8: D1ED003B 00D24323
	v_accvgpr_write_b32 a110, v56                              // 000000003BC0: D3D9406E 18000138
	v_accvgpr_write_b32 a114, v57                              // 000000003BC8: D3D94072 18000139
	v_accvgpr_write_b32 a118, v58                              // 000000003BD0: D3D94076 1800013A
	v_accvgpr_write_b32 a122, v59                              // 000000003BD8: D3D9407A 1800013B
	v_perm_b32 v32, v182, v180, s54                            // 000000003BE0: D1ED0020 00DB69B6
	v_perm_b32 v33, v182, v180, s55                            // 000000003BE8: D1ED0021 00DF69B6
	v_perm_b32 v34, v186, v184, s54                            // 000000003BF0: D1ED0022 00DB71BA
	v_perm_b32 v35, v186, v184, s55                            // 000000003BF8: D1ED0023 00DF71BA
	v_perm_b32 v56, v34, v32, s53                              // 000000003C00: D1ED0038 00D64122
	v_perm_b32 v57, v34, v32, s52                              // 000000003C08: D1ED0039 00D24122
	v_perm_b32 v58, v35, v33, s53                              // 000000003C10: D1ED003A 00D64323
	v_perm_b32 v59, v35, v33, s52                              // 000000003C18: D1ED003B 00D24323
	v_accvgpr_write_b32 a111, v56                              // 000000003C20: D3D9406F 18000138
	v_accvgpr_write_b32 a115, v57                              // 000000003C28: D3D94073 18000139
	v_accvgpr_write_b32 a119, v58                              // 000000003C30: D3D94077 1800013A
	v_accvgpr_write_b32 a123, v59                              // 000000003C38: D3D9407B 1800013B
	v_perm_b32 v32, v159, v157, s54                            // 000000003C40: D1ED0020 00DB3B9F
	v_perm_b32 v33, v159, v157, s55                            // 000000003C48: D1ED0021 00DF3B9F
	v_perm_b32 v34, v163, v161, s54                            // 000000003C50: D1ED0022 00DB43A3
	v_perm_b32 v35, v163, v161, s55                            // 000000003C58: D1ED0023 00DF43A3
	v_perm_b32 v56, v34, v32, s53                              // 000000003C60: D1ED0038 00D64122
	v_perm_b32 v57, v34, v32, s52                              // 000000003C68: D1ED0039 00D24122
	v_perm_b32 v58, v35, v33, s53                              // 000000003C70: D1ED003A 00D64323
	v_perm_b32 v59, v35, v33, s52                              // 000000003C78: D1ED003B 00D24323
	v_accvgpr_write_b32 a124, v56                              // 000000003C80: D3D9407C 18000138
	v_accvgpr_write_b32 a128, v57                              // 000000003C88: D3D94080 18000139
	v_accvgpr_write_b32 a132, v58                              // 000000003C90: D3D94084 1800013A
	v_accvgpr_write_b32 a136, v59                              // 000000003C98: D3D94088 1800013B
	v_perm_b32 v32, v167, v165, s54                            // 000000003CA0: D1ED0020 00DB4BA7
	v_perm_b32 v33, v167, v165, s55                            // 000000003CA8: D1ED0021 00DF4BA7
	v_perm_b32 v34, v171, v169, s54                            // 000000003CB0: D1ED0022 00DB53AB
	v_perm_b32 v35, v171, v169, s55                            // 000000003CB8: D1ED0023 00DF53AB
	v_perm_b32 v56, v34, v32, s53                              // 000000003CC0: D1ED0038 00D64122
	v_perm_b32 v57, v34, v32, s52                              // 000000003CC8: D1ED0039 00D24122
	v_perm_b32 v58, v35, v33, s53                              // 000000003CD0: D1ED003A 00D64323
	v_perm_b32 v59, v35, v33, s52                              // 000000003CD8: D1ED003B 00D24323
	v_accvgpr_write_b32 a125, v56                              // 000000003CE0: D3D9407D 18000138
	v_accvgpr_write_b32 a129, v57                              // 000000003CE8: D3D94081 18000139
	v_accvgpr_write_b32 a133, v58                              // 000000003CF0: D3D94085 1800013A
	v_accvgpr_write_b32 a137, v59                              // 000000003CF8: D3D94089 1800013B
	v_perm_b32 v32, v175, v173, s54                            // 000000003D00: D1ED0020 00DB5BAF
	v_perm_b32 v33, v175, v173, s55                            // 000000003D08: D1ED0021 00DF5BAF
	v_perm_b32 v34, v179, v177, s54                            // 000000003D10: D1ED0022 00DB63B3
	v_perm_b32 v35, v179, v177, s55                            // 000000003D18: D1ED0023 00DF63B3
	v_perm_b32 v56, v34, v32, s53                              // 000000003D20: D1ED0038 00D64122
	v_perm_b32 v57, v34, v32, s52                              // 000000003D28: D1ED0039 00D24122
	v_perm_b32 v58, v35, v33, s53                              // 000000003D30: D1ED003A 00D64323
	v_perm_b32 v59, v35, v33, s52                              // 000000003D38: D1ED003B 00D24323
	v_accvgpr_write_b32 a126, v56                              // 000000003D40: D3D9407E 18000138
	v_accvgpr_write_b32 a130, v57                              // 000000003D48: D3D94082 18000139
	v_accvgpr_write_b32 a134, v58                              // 000000003D50: D3D94086 1800013A
	v_accvgpr_write_b32 a138, v59                              // 000000003D58: D3D9408A 1800013B
	v_perm_b32 v32, v183, v181, s54                            // 000000003D60: D1ED0020 00DB6BB7
	v_perm_b32 v33, v183, v181, s55                            // 000000003D68: D1ED0021 00DF6BB7
	v_perm_b32 v34, v187, v185, s54                            // 000000003D70: D1ED0022 00DB73BB
	v_perm_b32 v35, v187, v185, s55                            // 000000003D78: D1ED0023 00DF73BB
	v_perm_b32 v56, v34, v32, s53                              // 000000003D80: D1ED0038 00D64122
	v_perm_b32 v57, v34, v32, s52                              // 000000003D88: D1ED0039 00D24122
	v_perm_b32 v58, v35, v33, s53                              // 000000003D90: D1ED003A 00D64323
	v_perm_b32 v59, v35, v33, s52                              // 000000003D98: D1ED003B 00D24323
	v_accvgpr_write_b32 a127, v56                              // 000000003DA0: D3D9407F 18000138
	v_accvgpr_write_b32 a131, v57                              // 000000003DA8: D3D94083 18000139
	v_accvgpr_write_b32 a135, v58                              // 000000003DB0: D3D94087 1800013A
	v_accvgpr_write_b32 a139, v59                              // 000000003DB8: D3D9408B 1800013B
	s_addk_i32 s70, 0x1                                        // 000000003DC0: B7460001
	s_cmp_lt_i32 s70, s71                                      // 000000003DC4: BF044746
	s_cbranch_scc0 label_0926                                  // 000000003DC8: BF840273
	s_waitcnt vmcnt(16) lgkmcnt(0)                             // 000000003DCC: BF8C4070
	s_barrier                                                  // 000000003DD0: BF8A0000
	v_mfma_f32_16x16x32_fp8_fp8 v[88:91], a[72:73], a[0:1], 0  // 000000003DD4: D3F30058 1A020148
	ds_write_b32 v20, v124                                     // 000000003DDC: D81A0000 00007C14
	ds_write_b32 v20, v125 offset:64                           // 000000003DE4: D81A0040 00007D14
	v_mfma_f32_16x16x32_fp8_fp8 v[88:91], a[74:75], a[2:3], v[88:91]// 000000003DEC: D3F30058 1D62054A
	buffer_load_dword v156, v40, s[20:23], 0 offen             // 000000003DF4: E0501000 80059C28
	buffer_load_dword v157, v40, s[20:23], 0 offen offset:64   // 000000003DFC: E0501040 80059D28
	v_mfma_f32_16x16x32_fp8_fp8 v[88:91], a[76:77], a[4:5], v[88:91]// 000000003E04: D3F30058 1D62094C
	ds_write_b32 v20, v126 offset:4128                         // 000000003E0C: D81A1020 00007E14
	ds_write_b32 v20, v127 offset:4192                         // 000000003E14: D81A1060 00007F14
	v_mfma_f32_16x16x32_fp8_fp8 v[88:91], a[78:79], a[6:7], v[88:91]// 000000003E1C: D3F30058 1D620D4E
	buffer_load_dword v25, v26, s[24:27], 0 offen              // 000000003E24: E0501000 8006191A
	v_mfma_f32_16x16x32_fp8_fp8 v[88:91], a[80:81], a[8:9], v[88:91]// 000000003E2C: D3F30058 1D621150
	ds_write_b32 v20, v128 offset:8256                         // 000000003E34: D81A2040 00008014
	ds_write_b32 v20, v129 offset:8320                         // 000000003E3C: D81A2080 00008114
	v_mfma_f32_16x16x32_fp8_fp8 v[88:91], a[82:83], a[10:11], v[88:91]// 000000003E44: D3F30058 1D621552
	buffer_load_dword v158, v41, s[20:23], 0 offen             // 000000003E4C: E0501000 80059E29
	buffer_load_dword v159, v41, s[20:23], 0 offen offset:64   // 000000003E54: E0501040 80059F29
	v_mfma_f32_16x16x32_fp8_fp8 v[88:91], a[84:85], a[12:13], v[88:91]// 000000003E5C: D3F30058 1D621954
	ds_write_b32 v20, v130 offset:12384                        // 000000003E64: D81A3060 00008214
	ds_write_b32 v20, v131 offset:12448                        // 000000003E6C: D81A30A0 00008314
	v_mfma_f32_16x16x32_fp8_fp8 v[88:91], a[86:87], a[14:15], v[88:91]// 000000003E74: D3F30058 1D621D56
	v_mfma_f32_16x16x32_fp8_fp8 v[88:91], a[88:89], a[16:17], v[88:91]// 000000003E7C: D3F30058 1D622158
	ds_write_b32 v20, v132 offset:512                          // 000000003E84: D81A0200 00008414
	ds_write_b32 v20, v133 offset:576                          // 000000003E8C: D81A0240 00008514
	v_mfma_f32_16x16x32_fp8_fp8 v[88:91], a[90:91], a[18:19], v[88:91]// 000000003E94: D3F30058 1D62255A
	buffer_load_dword v160, v42, s[20:23], 0 offen             // 000000003E9C: E0501000 8005A02A
	buffer_load_dword v161, v42, s[20:23], 0 offen offset:64   // 000000003EA4: E0501040 8005A12A
	v_mfma_f32_16x16x32_fp8_fp8 v[88:91], a[92:93], a[20:21], v[88:91]// 000000003EAC: D3F30058 1D62295C
	ds_write_b32 v20, v134 offset:4640                         // 000000003EB4: D81A1220 00008614
	ds_write_b32 v20, v135 offset:4704                         // 000000003EBC: D81A1260 00008714
	v_mfma_f32_16x16x32_fp8_fp8 v[88:91], a[94:95], a[22:23], v[88:91]// 000000003EC4: D3F30058 1D622D5E
	v_mfma_f32_16x16x32_fp8_fp8 v[88:91], a[96:97], a[24:25], v[88:91]// 000000003ECC: D3F30058 1D623160
	ds_write_b32 v20, v136 offset:8768                         // 000000003ED4: D81A2240 00008814
	ds_write_b32 v20, v137 offset:8832                         // 000000003EDC: D81A2280 00008914
	v_mfma_f32_16x16x32_fp8_fp8 v[88:91], a[98:99], a[26:27], v[88:91]// 000000003EE4: D3F30058 1D623562
	buffer_load_dword v162, v43, s[20:23], 0 offen             // 000000003EEC: E0501000 8005A22B
	buffer_load_dword v163, v43, s[20:23], 0 offen offset:64   // 000000003EF4: E0501040 8005A32B
	v_mfma_f32_16x16x32_fp8_fp8 v[88:91], a[100:101], a[28:29], v[88:91]// 000000003EFC: D3F30058 1D623964
	ds_write_b32 v20, v138 offset:12896                        // 000000003F04: D81A3260 00008A14
	ds_write_b32 v20, v139 offset:12960                        // 000000003F0C: D81A32A0 00008B14
	v_mfma_f32_16x16x32_fp8_fp8 v[88:91], a[102:103], a[30:31], v[88:91]// 000000003F14: D3F30058 1D623D66
	v_mfma_f32_16x16x32_fp8_fp8 v[88:91], a[104:105], a[32:33], v[88:91]// 000000003F1C: D3F30058 1D624168
	v_mfma_f32_16x16x32_fp8_fp8 v[88:91], a[106:107], a[34:35], v[88:91]// 000000003F24: D3F30058 1D62456A
	buffer_load_dword v164, v44, s[20:23], 0 offen             // 000000003F2C: E0501000 8005A42C
	buffer_load_dword v165, v44, s[20:23], 0 offen offset:64   // 000000003F34: E0501040 8005A52C
	buffer_load_dword v166, v45, s[20:23], 0 offen             // 000000003F3C: E0501000 8005A62D
	buffer_load_dword v167, v45, s[20:23], 0 offen offset:64   // 000000003F44: E0501040 8005A72D
	buffer_load_dword v168, v46, s[20:23], 0 offen             // 000000003F4C: E0501000 8005A82E
	buffer_load_dword v169, v46, s[20:23], 0 offen offset:64   // 000000003F54: E0501040 8005A92E
	buffer_load_dword v170, v47, s[20:23], 0 offen             // 000000003F5C: E0501000 8005AA2F
	buffer_load_dword v171, v47, s[20:23], 0 offen offset:64   // 000000003F64: E0501040 8005AB2F
	ds_write_b32 v21, v72 offset:16512                         // 000000003F6C: D81A4080 00004815
	ds_write_b32 v21, v73 offset:16584                         // 000000003F74: D81A40C8 00004915
	ds_write_b32 v21, v74 offset:16656                         // 000000003F7C: D81A4110 00004A15
	ds_write_b32 v21, v75 offset:16728                         // 000000003F84: D81A4158 00004B15
	s_waitcnt lgkmcnt(4)                                       // 000000003F8C: BF8CC47F
	s_barrier                                                  // 000000003F90: BF8A0000
	ds_read_b128 a[72:75], v22                                 // 000000003F94: DBFE0000 48000016
	ds_read_b128 a[76:79], v22 offset:64                       // 000000003F9C: DBFE0040 4C000016
	ds_read_b128 a[80:83], v22 offset:128                      // 000000003FA4: DBFE0080 50000016
	ds_read_b128 a[84:87], v22 offset:192                      // 000000003FAC: DBFE00C0 54000016
	ds_read_b128 a[88:91], v22 offset:256                      // 000000003FB4: DBFE0100 58000016
	ds_read_b128 a[92:95], v22 offset:320                      // 000000003FBC: DBFE0140 5C000016
	ds_read_b128 a[96:99], v22 offset:384                      // 000000003FC4: DBFE0180 60000016
	ds_read_b128 a[100:103], v22 offset:448                    // 000000003FCC: DBFE01C0 64000016
	v_add_u32_e32 v26, s73, v26                                // 000000003FD4: 68343449
	buffer_load_dword v80, v36, s[20:23], 0 offen              // 000000003FD8: E0501000 80055024
	buffer_load_dword v81, v37, s[20:23], 0 offen              // 000000003FE0: E0501000 80055125
	v_mov_b32_e32 v8, v88                                      // 000000003FE8: 7E100358
	v_max3_f32 v8, v88, v89, v8                                // 000000003FEC: D1D30008 0422B358
	v_max3_f32 v8, v90, v91, v8                                // 000000003FF4: D1D30008 0422B75A
	ds_write_b32 v5, v8 offset:21120                           // 000000003FFC: D81A5280 00000805
	buffer_load_dword v82, v38, s[20:23], 0 offen              // 000000004004: E0501000 80055226
	buffer_load_dword v83, v39, s[20:23], 0 offen              // 00000000400C: E0501000 80055327
	buffer_load_dword v172, v48, s[20:23], 0 offen             // 000000004014: E0501000 8005AC30
	buffer_load_dword v173, v48, s[20:23], 0 offen offset:64   // 00000000401C: E0501040 8005AD30
	s_waitcnt lgkmcnt(0)                                       // 000000004024: BF8CC07F
	s_barrier                                                  // 000000004028: BF8A0000
	ds_read_b32 v56, v4 offset:21120                           // 00000000402C: D86C5280 38000004
	ds_read_b32 v57, v4 offset:21184                           // 000000004034: D86C52C0 39000004
	ds_read_b32 v58, v4 offset:21248                           // 00000000403C: D86C5300 3A000004
	ds_read_b32 v59, v4 offset:21312                           // 000000004044: D86C5340 3B000004
	ds_read_b32 v60, v4 offset:21376                           // 00000000404C: D86C5380 3C000004
	ds_read_b32 v61, v4 offset:21440                           // 000000004054: D86C53C0 3D000004
	ds_read_b32 v62, v4 offset:21504                           // 00000000405C: D86C5400 3E000004
	ds_read_b32 v63, v4 offset:21568                           // 000000004064: D86C5440 3F000004
	ds_read_b32 v64, v4 offset:21632                           // 00000000406C: D86C5480 40000004
	buffer_load_dword v174, v49, s[20:23], 0 offen             // 000000004074: E0501000 8005AE31
	buffer_load_dword v175, v49, s[20:23], 0 offen offset:64   // 00000000407C: E0501040 8005AF31
	ds_read_b32 v65, v4 offset:21696                           // 000000004084: D86C54C0 41000004
	ds_read_b32 v66, v4 offset:21760                           // 00000000408C: D86C5500 42000004
	ds_read_b32 v67, v4 offset:21824                           // 000000004094: D86C5540 43000004
	ds_read_b32 v68, v4 offset:21888                           // 00000000409C: D86C5580 44000004
	ds_read_b32 v69, v4 offset:21952                           // 0000000040A4: D86C55C0 45000004
	ds_read_b32 v70, v4 offset:22016                           // 0000000040AC: D86C5600 46000004
	ds_read_b32 v71, v4 offset:22080                           // 0000000040B4: D86C5640 47000004
	buffer_load_dword v176, v50, s[20:23], 0 offen             // 0000000040BC: E0501000 8005B032
	buffer_load_dword v177, v50, s[20:23], 0 offen offset:64   // 0000000040C4: E0501040 8005B132
	s_waitcnt lgkmcnt(0)                                       // 0000000040CC: BF8CC07F
	v_max3_f32 v8, v56, v57, v8                                // 0000000040D0: D1D30008 04227338
	v_max3_f32 v8, v58, v59, v8                                // 0000000040D8: D1D30008 0422773A
	v_max3_f32 v8, v60, v61, v8                                // 0000000040E0: D1D30008 04227B3C
	v_max3_f32 v8, v62, v63, v8                                // 0000000040E8: D1D30008 04227F3E
	v_max3_f32 v8, v64, v65, v8                                // 0000000040F0: D1D30008 04228340
	v_max3_f32 v8, v66, v67, v8                                // 0000000040F8: D1D30008 04228742
	v_max3_f32 v8, v68, v69, v8                                // 000000004100: D1D30008 04228B44
	v_max3_f32 v8, v70, v71, v8                                // 000000004108: D1D30008 04228F46
	buffer_load_dword v178, v51, s[20:23], 0 offen             // 000000004110: E0501000 8005B233
	buffer_load_dword v179, v51, s[20:23], 0 offen offset:64   // 000000004118: E0501040 8005B333
	v_cmp_eq_u32_e64 s[34:35], v11, v12                        // 000000004120: D0CA0022 0002190B
	v_max_f32_e32 v13, v8, v12                                 // 000000004128: 161A1908
	v_sub_f32_e32 v18, v12, v13                                // 00000000412C: 04241B0C
	v_cndmask_b32_e64 v18, v18, 0, s[34:35]                    // 000000004130: D1000012 00890112
	v_mov_b32_e32 v12, v13                                     // 000000004138: 7E18030D
	v_mul_f32_e32 v9, s5, v13                                  // 00000000413C: 0A121A05
	v_mul_f32_e32 v18, s5, v18                                 // 000000004140: 0A242405
	v_exp_f32_e32 v18, v18                                     // 000000004144: 7E244112
	buffer_load_dword v180, v52, s[20:23], 0 offen             // 000000004148: E0501000 8005B434
	buffer_load_dword v181, v52, s[20:23], 0 offen offset:64   // 000000004150: E0501040 8005B534
	v_fma_f32 v88, v88, s5, -v9                                // 000000004158: D1CB0058 84240B58
	v_fma_f32 v89, v89, s5, -v9                                // 000000004160: D1CB0059 84240B59
	v_fma_f32 v90, v90, s5, -v9                                // 000000004168: D1CB005A 84240B5A
	v_fma_f32 v91, v91, s5, -v9                                // 000000004170: D1CB005B 84240B5B
	v_exp_f32_e32 v88, v88                                     // 000000004178: 7EB04158
	v_exp_f32_e32 v89, v89                                     // 00000000417C: 7EB24159
	v_exp_f32_e32 v90, v90                                     // 000000004180: 7EB4415A
	v_exp_f32_e32 v91, v91                                     // 000000004184: 7EB6415B
	buffer_load_dword v182, v53, s[20:23], 0 offen             // 000000004188: E0501000 8005B635
	buffer_load_dword v183, v53, s[20:23], 0 offen offset:64   // 000000004190: E0501040 8005B735
	v_mul_f32_e32 v14, v18, v14                                // 000000004198: 0A1C1D12
	v_mov_b32_e32 v15, v88                                     // 00000000419C: 7E1E0358
	v_add_f32_e32 v15, v89, v15                                // 0000000041A0: 021E1F59
	v_add_f32_e32 v15, v90, v15                                // 0000000041A4: 021E1F5A
	v_add_f32_e32 v15, v91, v15                                // 0000000041A8: 021E1F5B
	v_add_f32_e32 v14, v15, v14                                // 0000000041AC: 021C1D0F
	buffer_load_dword v184, v54, s[20:23], 0 offen             // 0000000041B0: E0501000 8005B836
	buffer_load_dword v185, v54, s[20:23], 0 offen offset:64   // 0000000041B8: E0501040 8005B936
	v_cvt_pk_fp8_f32 v88, v88, v89                             // 0000000041C0: D2A20058 0002B358
	v_cvt_pk_fp8_f32 v88, v90, v91 op_sel:[0,0,1]              // 0000000041C8: D2A24058 0002B75A
	ds_write_b32 v7, v88                                       // 0000000041D0: D81A0000 00005807
	v_mov_b32_e32 v32, v18                                     // 0000000041D8: 7E400312
	v_mov_b32_e32 v33, v18                                     // 0000000041DC: 7E420312
	v_pk_mul_f32 v[92:93], v[32:33], v[92:93]                  // 0000000041E0: D3B1405C 1802B920
	v_pk_mul_f32 v[94:95], v[32:33], v[94:95]                  // 0000000041E8: D3B1405E 1802BD20
	v_pk_mul_f32 v[96:97], v[32:33], v[96:97]                  // 0000000041F0: D3B14060 1802C120
	v_pk_mul_f32 v[98:99], v[32:33], v[98:99]                  // 0000000041F8: D3B14062 1802C520
	v_pk_mul_f32 v[100:101], v[32:33], v[100:101]              // 000000004200: D3B14064 1802C920
	v_pk_mul_f32 v[102:103], v[32:33], v[102:103]              // 000000004208: D3B14066 1802CD20
	v_pk_mul_f32 v[104:105], v[32:33], v[104:105]              // 000000004210: D3B14068 1802D120
	v_pk_mul_f32 v[106:107], v[32:33], v[106:107]              // 000000004218: D3B1406A 1802D520
	v_pk_mul_f32 v[108:109], v[32:33], v[108:109]              // 000000004220: D3B1406C 1802D920
	v_pk_mul_f32 v[110:111], v[32:33], v[110:111]              // 000000004228: D3B1406E 1802DD20
	v_pk_mul_f32 v[112:113], v[32:33], v[112:113]              // 000000004230: D3B14070 1802E120
	v_pk_mul_f32 v[114:115], v[32:33], v[114:115]              // 000000004238: D3B14072 1802E520
	v_pk_mul_f32 v[116:117], v[32:33], v[116:117]              // 000000004240: D3B14074 1802E920
	v_pk_mul_f32 v[118:119], v[32:33], v[118:119]              // 000000004248: D3B14076 1802ED20
	v_pk_mul_f32 v[120:121], v[32:33], v[120:121]              // 000000004250: D3B14078 1802F120
	v_pk_mul_f32 v[122:123], v[32:33], v[122:123]              // 000000004258: D3B1407A 1802F520
	buffer_load_dword v186, v55, s[20:23], 0 offen             // 000000004260: E0501000 8005BA37
	buffer_load_dword v187, v55, s[20:23], 0 offen offset:64   // 000000004268: E0501040 8005BB37
	s_waitcnt lgkmcnt(0)                                       // 000000004270: BF8CC07F
	s_barrier                                                  // 000000004274: BF8A0000
	ds_read_b64 v[88:89], v6                                   // 000000004278: D8EC0000 58000006
	ds_read_b64 v[90:91], v6 offset:32                         // 000000004280: D8EC0020 5A000006
	v_mul_u32_u24_dpp v40, v24, v10 row_newbcast:0 row_mask:0xf bank_mask:0xf// 000000004288: 105014FA FF015018
	v_mul_u32_u24_dpp v41, v24, v10 row_newbcast:1 row_mask:0xf bank_mask:0xf// 000000004290: 105214FA FF015118
	v_mul_u32_u24_dpp v42, v24, v10 row_newbcast:2 row_mask:0xf bank_mask:0xf// 000000004298: 105414FA FF015218
	v_mul_u32_u24_dpp v43, v24, v10 row_newbcast:3 row_mask:0xf bank_mask:0xf// 0000000042A0: 105614FA FF015318
	v_mul_u32_u24_dpp v44, v24, v10 row_newbcast:4 row_mask:0xf bank_mask:0xf// 0000000042A8: 105814FA FF015418
	v_mul_u32_u24_dpp v45, v24, v10 row_newbcast:5 row_mask:0xf bank_mask:0xf// 0000000042B0: 105A14FA FF015518
	v_mul_u32_u24_dpp v46, v24, v10 row_newbcast:6 row_mask:0xf bank_mask:0xf// 0000000042B8: 105C14FA FF015618
	v_mul_u32_u24_dpp v47, v24, v10 row_newbcast:7 row_mask:0xf bank_mask:0xf// 0000000042C0: 105E14FA FF015718
	v_mul_u32_u24_dpp v48, v24, v10 row_newbcast:8 row_mask:0xf bank_mask:0xf// 0000000042C8: 106014FA FF015818
	v_mul_u32_u24_dpp v49, v24, v10 row_newbcast:9 row_mask:0xf bank_mask:0xf// 0000000042D0: 106214FA FF015918
	v_mul_u32_u24_dpp v50, v24, v10 row_newbcast:10 row_mask:0xf bank_mask:0xf// 0000000042D8: 106414FA FF015A18
	v_mul_u32_u24_dpp v51, v24, v10 row_newbcast:11 row_mask:0xf bank_mask:0xf// 0000000042E0: 106614FA FF015B18
	v_mul_u32_u24_dpp v52, v24, v10 row_newbcast:12 row_mask:0xf bank_mask:0xf// 0000000042E8: 106814FA FF015C18
	v_mul_u32_u24_dpp v53, v24, v10 row_newbcast:13 row_mask:0xf bank_mask:0xf// 0000000042F0: 106A14FA FF015D18
	v_mul_u32_u24_dpp v54, v24, v10 row_newbcast:14 row_mask:0xf bank_mask:0xf// 0000000042F8: 106C14FA FF015E18
	v_mul_u32_u24_dpp v55, v24, v10 row_newbcast:15 row_mask:0xf bank_mask:0xf// 000000004300: 106E14FA FF015F18
	s_mov_b32 s56, m0                                          // 000000004308: BEB8007C
	s_set_gpr_idx_on s51, gpr_idx(SRC0)                        // 00000000430C: BF110133
	v_add_u32_e32 v36, v40, v3                                 // 000000004310: 68480728
	v_add_u32_e32 v37, v41, v3                                 // 000000004314: 684A0729
	v_add_u32_e32 v38, v42, v3                                 // 000000004318: 684C072A
	v_add_u32_e32 v39, v43, v3                                 // 00000000431C: 684E072B
	s_set_gpr_idx_off                                          // 000000004320: BF9C0000
	s_mov_b32 m0, s56                                          // 000000004324: BEFC0038
	v_add_u32_e32 v40, v40, v2                                 // 000000004328: 68500528
	v_add_u32_e32 v41, v41, v2                                 // 00000000432C: 68520529
	v_add_u32_e32 v42, v42, v2                                 // 000000004330: 6854052A
	v_add_u32_e32 v43, v43, v2                                 // 000000004334: 6856052B
	v_add_u32_e32 v44, v44, v2                                 // 000000004338: 6858052C
	v_add_u32_e32 v45, v45, v2                                 // 00000000433C: 685A052D
	v_add_u32_e32 v46, v46, v2                                 // 000000004340: 685C052E
	v_add_u32_e32 v47, v47, v2                                 // 000000004344: 685E052F
	v_add_u32_e32 v48, v48, v2                                 // 000000004348: 68600530
	v_add_u32_e32 v49, v49, v2                                 // 00000000434C: 68620531
	v_add_u32_e32 v50, v50, v2                                 // 000000004350: 68640532
	v_add_u32_e32 v51, v51, v2                                 // 000000004354: 68660533
	;; [unrolled: 1-line block ×3, first 2 shown]
	v_add_u32_e32 v53, v53, v2                                 // 00000000435C: 686A0535
	v_add_u32_e32 v54, v54, v2                                 // 000000004360: 686C0536
	v_add_u32_e32 v55, v55, v2                                 // 000000004364: 686E0537
	s_waitcnt lgkmcnt(0)                                       // 000000004368: BF8CC07F
	s_waitcnt vmcnt(37)                                        // 00000000436C: BF8C8F75
	v_mfma_f32_16x16x32_fp8_fp8 v[92:95], a[108:109], v[88:89], v[92:95]// 000000004370: D3F3005C 0D72B16C
	v_mfma_f32_16x16x32_fp8_fp8 v[92:95], a[110:111], v[90:91], v[92:95]// 000000004378: D3F3005C 0D72B56E
	ds_write_b32 v20, v140                                     // 000000004380: D81A0000 00008C14
	ds_write_b32 v20, v141 offset:64                           // 000000004388: D81A0040 00008D14
	v_mfma_f32_16x16x32_fp8_fp8 v[96:99], a[112:113], v[88:89], v[96:99]// 000000004390: D3F30060 0D82B170
	v_mfma_f32_16x16x32_fp8_fp8 v[96:99], a[114:115], v[90:91], v[96:99]// 000000004398: D3F30060 0D82B572
	ds_write_b32 v20, v142 offset:4128                         // 0000000043A0: D81A1020 00008E14
	ds_write_b32 v20, v143 offset:4192                         // 0000000043A8: D81A1060 00008F14
	v_mfma_f32_16x16x32_fp8_fp8 v[100:103], a[116:117], v[88:89], v[100:103]// 0000000043B0: D3F30064 0D92B174
	v_mfma_f32_16x16x32_fp8_fp8 v[100:103], a[118:119], v[90:91], v[100:103]// 0000000043B8: D3F30064 0D92B576
	ds_write_b32 v20, v144 offset:8256                         // 0000000043C0: D81A2040 00009014
	ds_write_b32 v20, v145 offset:8320                         // 0000000043C8: D81A2080 00009114
	v_mfma_f32_16x16x32_fp8_fp8 v[104:107], a[120:121], v[88:89], v[104:107]// 0000000043D0: D3F30068 0DA2B178
	v_mfma_f32_16x16x32_fp8_fp8 v[104:107], a[122:123], v[90:91], v[104:107]// 0000000043D8: D3F30068 0DA2B57A
	ds_write_b32 v20, v146 offset:12384                        // 0000000043E0: D81A3060 00009214
	ds_write_b32 v20, v147 offset:12448                        // 0000000043E8: D81A30A0 00009314
	v_mfma_f32_16x16x32_fp8_fp8 v[108:111], a[124:125], v[88:89], v[108:111]// 0000000043F0: D3F3006C 0DB2B17C
	v_mfma_f32_16x16x32_fp8_fp8 v[108:111], a[126:127], v[90:91], v[108:111]// 0000000043F8: D3F3006C 0DB2B57E
	ds_write_b32 v20, v148 offset:512                          // 000000004400: D81A0200 00009414
	ds_write_b32 v20, v149 offset:576                          // 000000004408: D81A0240 00009514
	v_mfma_f32_16x16x32_fp8_fp8 v[112:115], a[128:129], v[88:89], v[112:115]// 000000004410: D3F30070 0DC2B180
	v_mfma_f32_16x16x32_fp8_fp8 v[112:115], a[130:131], v[90:91], v[112:115]// 000000004418: D3F30070 0DC2B582
	ds_write_b32 v20, v150 offset:4640                         // 000000004420: D81A1220 00009614
	ds_write_b32 v20, v151 offset:4704                         // 000000004428: D81A1260 00009714
	v_mfma_f32_16x16x32_fp8_fp8 v[116:119], a[132:133], v[88:89], v[116:119]// 000000004430: D3F30074 0DD2B184
	v_mfma_f32_16x16x32_fp8_fp8 v[116:119], a[134:135], v[90:91], v[116:119]// 000000004438: D3F30074 0DD2B586
	ds_write_b32 v20, v152 offset:8768                         // 000000004440: D81A2240 00009814
	ds_write_b32 v20, v153 offset:8832                         // 000000004448: D81A2280 00009914
	v_mfma_f32_16x16x32_fp8_fp8 v[120:123], a[136:137], v[88:89], v[120:123]// 000000004450: D3F30078 0DE2B188
	v_mfma_f32_16x16x32_fp8_fp8 v[120:123], a[138:139], v[90:91], v[120:123]// 000000004458: D3F30078 0DE2B58A
	ds_write_b32 v20, v154 offset:12896                        // 000000004460: D81A3260 00009A14
	ds_write_b32 v20, v155 offset:12960                        // 000000004468: D81A32A0 00009B14
	ds_read_b64 a[104:105], v23 offset:16512                   // 000000004470: DAEC4080 68000017
	ds_read_b64 a[106:107], v23 offset:16520                   // 000000004478: DAEC4088 6A000017
	s_waitcnt lgkmcnt(4)                                       // 000000004480: BF8CC47F
	s_barrier                                                  // 000000004484: BF8A0000
	v_perm_b32 v32, v126, v124, s54                            // 000000004488: D1ED0020 00DAF97E
	v_perm_b32 v33, v126, v124, s55                            // 000000004490: D1ED0021 00DEF97E
	v_perm_b32 v34, v130, v128, s54                            // 000000004498: D1ED0022 00DB0182
	v_perm_b32 v35, v130, v128, s55                            // 0000000044A0: D1ED0023 00DF0182
	v_perm_b32 v56, v34, v32, s53                              // 0000000044A8: D1ED0038 00D64122
	v_perm_b32 v57, v34, v32, s52                              // 0000000044B0: D1ED0039 00D24122
	v_perm_b32 v58, v35, v33, s53                              // 0000000044B8: D1ED003A 00D64323
	v_perm_b32 v59, v35, v33, s52                              // 0000000044C0: D1ED003B 00D24323
	v_accvgpr_write_b32 a108, v56                              // 0000000044C8: D3D9406C 18000138
	v_accvgpr_write_b32 a112, v57                              // 0000000044D0: D3D94070 18000139
	v_accvgpr_write_b32 a116, v58                              // 0000000044D8: D3D94074 1800013A
	v_accvgpr_write_b32 a120, v59                              // 0000000044E0: D3D94078 1800013B
	v_perm_b32 v32, v134, v132, s54                            // 0000000044E8: D1ED0020 00DB0986
	v_perm_b32 v33, v134, v132, s55                            // 0000000044F0: D1ED0021 00DF0986
	v_perm_b32 v34, v138, v136, s54                            // 0000000044F8: D1ED0022 00DB118A
	v_perm_b32 v35, v138, v136, s55                            // 000000004500: D1ED0023 00DF118A
	v_perm_b32 v56, v34, v32, s53                              // 000000004508: D1ED0038 00D64122
	v_perm_b32 v57, v34, v32, s52                              // 000000004510: D1ED0039 00D24122
	v_perm_b32 v58, v35, v33, s53                              // 000000004518: D1ED003A 00D64323
	v_perm_b32 v59, v35, v33, s52                              // 000000004520: D1ED003B 00D24323
	v_accvgpr_write_b32 a109, v56                              // 000000004528: D3D9406D 18000138
	v_accvgpr_write_b32 a113, v57                              // 000000004530: D3D94071 18000139
	v_accvgpr_write_b32 a117, v58                              // 000000004538: D3D94075 1800013A
	v_accvgpr_write_b32 a121, v59                              // 000000004540: D3D94079 1800013B
	v_perm_b32 v32, v142, v140, s54                            // 000000004548: D1ED0020 00DB198E
	v_perm_b32 v33, v142, v140, s55                            // 000000004550: D1ED0021 00DF198E
	v_perm_b32 v34, v146, v144, s54                            // 000000004558: D1ED0022 00DB2192
	v_perm_b32 v35, v146, v144, s55                            // 000000004560: D1ED0023 00DF2192
	v_perm_b32 v56, v34, v32, s53                              // 000000004568: D1ED0038 00D64122
	v_perm_b32 v57, v34, v32, s52                              // 000000004570: D1ED0039 00D24122
	v_perm_b32 v58, v35, v33, s53                              // 000000004578: D1ED003A 00D64323
	v_perm_b32 v59, v35, v33, s52                              // 000000004580: D1ED003B 00D24323
	v_accvgpr_write_b32 a110, v56                              // 000000004588: D3D9406E 18000138
	v_accvgpr_write_b32 a114, v57                              // 000000004590: D3D94072 18000139
	v_accvgpr_write_b32 a118, v58                              // 000000004598: D3D94076 1800013A
	v_accvgpr_write_b32 a122, v59                              // 0000000045A0: D3D9407A 1800013B
	v_perm_b32 v32, v150, v148, s54                            // 0000000045A8: D1ED0020 00DB2996
	v_perm_b32 v33, v150, v148, s55                            // 0000000045B0: D1ED0021 00DF2996
	v_perm_b32 v34, v154, v152, s54                            // 0000000045B8: D1ED0022 00DB319A
	v_perm_b32 v35, v154, v152, s55                            // 0000000045C0: D1ED0023 00DF319A
	v_perm_b32 v56, v34, v32, s53                              // 0000000045C8: D1ED0038 00D64122
	v_perm_b32 v57, v34, v32, s52                              // 0000000045D0: D1ED0039 00D24122
	v_perm_b32 v58, v35, v33, s53                              // 0000000045D8: D1ED003A 00D64323
	v_perm_b32 v59, v35, v33, s52                              // 0000000045E0: D1ED003B 00D24323
	v_accvgpr_write_b32 a111, v56                              // 0000000045E8: D3D9406F 18000138
	v_accvgpr_write_b32 a115, v57                              // 0000000045F0: D3D94073 18000139
	v_accvgpr_write_b32 a119, v58                              // 0000000045F8: D3D94077 1800013A
	v_accvgpr_write_b32 a123, v59                              // 000000004600: D3D9407B 1800013B
	v_perm_b32 v32, v127, v125, s54                            // 000000004608: D1ED0020 00DAFB7F
	v_perm_b32 v33, v127, v125, s55                            // 000000004610: D1ED0021 00DEFB7F
	v_perm_b32 v34, v131, v129, s54                            // 000000004618: D1ED0022 00DB0383
	v_perm_b32 v35, v131, v129, s55                            // 000000004620: D1ED0023 00DF0383
	v_perm_b32 v56, v34, v32, s53                              // 000000004628: D1ED0038 00D64122
	v_perm_b32 v57, v34, v32, s52                              // 000000004630: D1ED0039 00D24122
	v_perm_b32 v58, v35, v33, s53                              // 000000004638: D1ED003A 00D64323
	v_perm_b32 v59, v35, v33, s52                              // 000000004640: D1ED003B 00D24323
	v_accvgpr_write_b32 a124, v56                              // 000000004648: D3D9407C 18000138
	v_accvgpr_write_b32 a128, v57                              // 000000004650: D3D94080 18000139
	v_accvgpr_write_b32 a132, v58                              // 000000004658: D3D94084 1800013A
	v_accvgpr_write_b32 a136, v59                              // 000000004660: D3D94088 1800013B
	v_perm_b32 v32, v135, v133, s54                            // 000000004668: D1ED0020 00DB0B87
	v_perm_b32 v33, v135, v133, s55                            // 000000004670: D1ED0021 00DF0B87
	v_perm_b32 v34, v139, v137, s54                            // 000000004678: D1ED0022 00DB138B
	v_perm_b32 v35, v139, v137, s55                            // 000000004680: D1ED0023 00DF138B
	v_perm_b32 v56, v34, v32, s53                              // 000000004688: D1ED0038 00D64122
	v_perm_b32 v57, v34, v32, s52                              // 000000004690: D1ED0039 00D24122
	v_perm_b32 v58, v35, v33, s53                              // 000000004698: D1ED003A 00D64323
	v_perm_b32 v59, v35, v33, s52                              // 0000000046A0: D1ED003B 00D24323
	v_accvgpr_write_b32 a125, v56                              // 0000000046A8: D3D9407D 18000138
	v_accvgpr_write_b32 a129, v57                              // 0000000046B0: D3D94081 18000139
	v_accvgpr_write_b32 a133, v58                              // 0000000046B8: D3D94085 1800013A
	v_accvgpr_write_b32 a137, v59                              // 0000000046C0: D3D94089 1800013B
	v_perm_b32 v32, v143, v141, s54                            // 0000000046C8: D1ED0020 00DB1B8F
	v_perm_b32 v33, v143, v141, s55                            // 0000000046D0: D1ED0021 00DF1B8F
	v_perm_b32 v34, v147, v145, s54                            // 0000000046D8: D1ED0022 00DB2393
	v_perm_b32 v35, v147, v145, s55                            // 0000000046E0: D1ED0023 00DF2393
	v_perm_b32 v56, v34, v32, s53                              // 0000000046E8: D1ED0038 00D64122
	v_perm_b32 v57, v34, v32, s52                              // 0000000046F0: D1ED0039 00D24122
	v_perm_b32 v58, v35, v33, s53                              // 0000000046F8: D1ED003A 00D64323
	v_perm_b32 v59, v35, v33, s52                              // 000000004700: D1ED003B 00D24323
	v_accvgpr_write_b32 a126, v56                              // 000000004708: D3D9407E 18000138
	v_accvgpr_write_b32 a130, v57                              // 000000004710: D3D94082 18000139
	v_accvgpr_write_b32 a134, v58                              // 000000004718: D3D94086 1800013A
	v_accvgpr_write_b32 a138, v59                              // 000000004720: D3D9408A 1800013B
	v_perm_b32 v32, v151, v149, s54                            // 000000004728: D1ED0020 00DB2B97
	v_perm_b32 v33, v151, v149, s55                            // 000000004730: D1ED0021 00DF2B97
	v_perm_b32 v34, v155, v153, s54                            // 000000004738: D1ED0022 00DB339B
	v_perm_b32 v35, v155, v153, s55                            // 000000004740: D1ED0023 00DF339B
	v_perm_b32 v56, v34, v32, s53                              // 000000004748: D1ED0038 00D64122
	v_perm_b32 v57, v34, v32, s52                              // 000000004750: D1ED0039 00D24122
	v_perm_b32 v58, v35, v33, s53                              // 000000004758: D1ED003A 00D64323
	v_perm_b32 v59, v35, v33, s52                              // 000000004760: D1ED003B 00D24323
	v_accvgpr_write_b32 a127, v56                              // 000000004768: D3D9407F 18000138
	v_accvgpr_write_b32 a131, v57                              // 000000004770: D3D94083 18000139
	v_accvgpr_write_b32 a135, v58                              // 000000004778: D3D94087 1800013A
	v_accvgpr_write_b32 a139, v59                              // 000000004780: D3D9408B 1800013B
	s_addk_i32 s70, 0x1                                        // 000000004788: B7460001
	s_cmp_lt_i32 s70, s71                                      // 00000000478C: BF044746
	s_cbranch_scc0 label_0926                                  // 000000004790: BF840001
	s_branch label_0441                                        // 000000004794: BF82FB1B

0000000000004798 <label_0926>:
	s_nop 0                                                    // 000000004798: BF800000
	s_nop 0                                                    // 00000000479C: BF800000
	s_branch label_0E0E                                        // 0000000047A0: BF8204E5

00000000000047a4 <label_0929>:
	s_waitcnt vmcnt(16) lgkmcnt(0)                             // 0000000047A4: BF8C4070
	s_barrier                                                  // 0000000047A8: BF8A0000
	v_mfma_f32_16x16x32_fp8_fp8 v[88:91], a[72:73], a[0:1], 0  // 0000000047AC: D3F30058 1A020148
	buffer_load_dword v124, v40, s[20:23], 0 offen             // 0000000047B4: E0501000 80057C28
	buffer_load_dword v125, v40, s[20:23], 0 offen offset:64   // 0000000047BC: E0501040 80057D28
	v_mfma_f32_16x16x32_fp8_fp8 v[88:91], a[74:75], a[2:3], v[88:91]// 0000000047C4: D3F30058 1D62054A
	ds_write_b32 v20, v156                                     // 0000000047CC: D81A0000 00009C14
	ds_write_b32 v20, v157 offset:64                           // 0000000047D4: D81A0040 00009D14
	v_mfma_f32_16x16x32_fp8_fp8 v[88:91], a[76:77], a[4:5], v[88:91]// 0000000047DC: D3F30058 1D62094C
	buffer_load_dword v24, v26, s[24:27], 0 offen              // 0000000047E4: E0501000 8006181A
	v_mfma_f32_16x16x32_fp8_fp8 v[88:91], a[78:79], a[6:7], v[88:91]// 0000000047EC: D3F30058 1D620D4E
	ds_write_b32 v20, v158 offset:4128                         // 0000000047F4: D81A1020 00009E14
	ds_write_b32 v20, v159 offset:4192                         // 0000000047FC: D81A1060 00009F14
	v_mfma_f32_16x16x32_fp8_fp8 v[88:91], a[80:81], a[8:9], v[88:91]// 000000004804: D3F30058 1D621150
	buffer_load_dword v126, v41, s[20:23], 0 offen             // 00000000480C: E0501000 80057E29
	buffer_load_dword v127, v41, s[20:23], 0 offen offset:64   // 000000004814: E0501040 80057F29
	v_mfma_f32_16x16x32_fp8_fp8 v[88:91], a[82:83], a[10:11], v[88:91]// 00000000481C: D3F30058 1D621552
	ds_write_b32 v20, v160 offset:8256                         // 000000004824: D81A2040 0000A014
	ds_write_b32 v20, v161 offset:8320                         // 00000000482C: D81A2080 0000A114
	v_mfma_f32_16x16x32_fp8_fp8 v[88:91], a[84:85], a[12:13], v[88:91]// 000000004834: D3F30058 1D621954
	v_mfma_f32_16x16x32_fp8_fp8 v[88:91], a[86:87], a[14:15], v[88:91]// 00000000483C: D3F30058 1D621D56
	ds_write_b32 v20, v162 offset:12384                        // 000000004844: D81A3060 0000A214
	ds_write_b32 v20, v163 offset:12448                        // 00000000484C: D81A30A0 0000A314
	v_mfma_f32_16x16x32_fp8_fp8 v[88:91], a[88:89], a[16:17], v[88:91]// 000000004854: D3F30058 1D622158
	buffer_load_dword v128, v42, s[20:23], 0 offen             // 00000000485C: E0501000 8005802A
	buffer_load_dword v129, v42, s[20:23], 0 offen offset:64   // 000000004864: E0501040 8005812A
	v_mfma_f32_16x16x32_fp8_fp8 v[88:91], a[90:91], a[18:19], v[88:91]// 00000000486C: D3F30058 1D62255A
	ds_write_b32 v20, v164 offset:512                          // 000000004874: D81A0200 0000A414
	ds_write_b32 v20, v165 offset:576                          // 00000000487C: D81A0240 0000A514
	v_mfma_f32_16x16x32_fp8_fp8 v[88:91], a[92:93], a[20:21], v[88:91]// 000000004884: D3F30058 1D62295C
	v_mfma_f32_16x16x32_fp8_fp8 v[88:91], a[94:95], a[22:23], v[88:91]// 00000000488C: D3F30058 1D622D5E
	ds_write_b32 v20, v166 offset:4640                         // 000000004894: D81A1220 0000A614
	ds_write_b32 v20, v167 offset:4704                         // 00000000489C: D81A1260 0000A714
	v_mfma_f32_16x16x32_fp8_fp8 v[88:91], a[96:97], a[24:25], v[88:91]// 0000000048A4: D3F30058 1D623160
	buffer_load_dword v130, v43, s[20:23], 0 offen             // 0000000048AC: E0501000 8005822B
	buffer_load_dword v131, v43, s[20:23], 0 offen offset:64   // 0000000048B4: E0501040 8005832B
	v_mfma_f32_16x16x32_fp8_fp8 v[88:91], a[98:99], a[26:27], v[88:91]// 0000000048BC: D3F30058 1D623562
	ds_write_b32 v20, v168 offset:8768                         // 0000000048C4: D81A2240 0000A814
	ds_write_b32 v20, v169 offset:8832                         // 0000000048CC: D81A2280 0000A914
	v_mfma_f32_16x16x32_fp8_fp8 v[88:91], a[100:101], a[28:29], v[88:91]// 0000000048D4: D3F30058 1D623964
	v_mfma_f32_16x16x32_fp8_fp8 v[88:91], a[102:103], a[30:31], v[88:91]// 0000000048DC: D3F30058 1D623D66
	ds_write_b32 v20, v170 offset:12896                        // 0000000048E4: D81A3260 0000AA14
	ds_write_b32 v20, v171 offset:12960                        // 0000000048EC: D81A32A0 0000AB14
	v_mfma_f32_16x16x32_fp8_fp8 v[88:91], a[104:105], a[32:33], v[88:91]// 0000000048F4: D3F30058 1D624168
	buffer_load_dword v132, v44, s[20:23], 0 offen             // 0000000048FC: E0501000 8005842C
	buffer_load_dword v133, v44, s[20:23], 0 offen offset:64   // 000000004904: E0501040 8005852C
	v_mfma_f32_16x16x32_fp8_fp8 v[88:91], a[106:107], a[34:35], v[88:91]// 00000000490C: D3F30058 1D62456A
	buffer_load_dword v134, v45, s[20:23], 0 offen             // 000000004914: E0501000 8005862D
	buffer_load_dword v135, v45, s[20:23], 0 offen offset:64   // 00000000491C: E0501040 8005872D
	buffer_load_dword v136, v46, s[20:23], 0 offen             // 000000004924: E0501000 8005882E
	buffer_load_dword v137, v46, s[20:23], 0 offen offset:64   // 00000000492C: E0501040 8005892E
	buffer_load_dword v138, v47, s[20:23], 0 offen             // 000000004934: E0501000 80058A2F
	buffer_load_dword v139, v47, s[20:23], 0 offen offset:64   // 00000000493C: E0501040 80058B2F
	ds_write_b32 v21, v80 offset:16512                         // 000000004944: D81A4080 00005015
	ds_write_b32 v21, v81 offset:16584                         // 00000000494C: D81A40C8 00005115
	ds_write_b32 v21, v82 offset:16656                         // 000000004954: D81A4110 00005215
	ds_write_b32 v21, v83 offset:16728                         // 00000000495C: D81A4158 00005315
	s_waitcnt lgkmcnt(4)                                       // 000000004964: BF8CC47F
	s_barrier                                                  // 000000004968: BF8A0000
	v_add_u32_e32 v26, s73, v26                                // 00000000496C: 68343449
	buffer_load_dword v72, v36, s[20:23], 0 offen              // 000000004970: E0501000 80054824
	buffer_load_dword v73, v37, s[20:23], 0 offen              // 000000004978: E0501000 80054925
	v_mov_b32_e32 v8, v88                                      // 000000004980: 7E100358
	v_max3_f32 v8, v88, v89, v8                                // 000000004984: D1D30008 0422B358
	v_max3_f32 v8, v90, v91, v8                                // 00000000498C: D1D30008 0422B75A
	ds_write_b32 v5, v8 offset:21120                           // 000000004994: D81A5280 00000805
	buffer_load_dword v74, v38, s[20:23], 0 offen              // 00000000499C: E0501000 80054A26
	buffer_load_dword v75, v39, s[20:23], 0 offen              // 0000000049A4: E0501000 80054B27
	buffer_load_dword v140, v48, s[20:23], 0 offen             // 0000000049AC: E0501000 80058C30
	buffer_load_dword v141, v48, s[20:23], 0 offen offset:64   // 0000000049B4: E0501040 80058D30
	s_waitcnt lgkmcnt(0)                                       // 0000000049BC: BF8CC07F
	s_barrier                                                  // 0000000049C0: BF8A0000
	ds_read_b32 v56, v4 offset:21120                           // 0000000049C4: D86C5280 38000004
	ds_read_b32 v57, v4 offset:21184                           // 0000000049CC: D86C52C0 39000004
	ds_read_b32 v58, v4 offset:21248                           // 0000000049D4: D86C5300 3A000004
	ds_read_b32 v59, v4 offset:21312                           // 0000000049DC: D86C5340 3B000004
	ds_read_b32 v60, v4 offset:21376                           // 0000000049E4: D86C5380 3C000004
	ds_read_b32 v61, v4 offset:21440                           // 0000000049EC: D86C53C0 3D000004
	ds_read_b32 v62, v4 offset:21504                           // 0000000049F4: D86C5400 3E000004
	ds_read_b32 v63, v4 offset:21568                           // 0000000049FC: D86C5440 3F000004
	ds_read_b32 v64, v4 offset:21632                           // 000000004A04: D86C5480 40000004
	buffer_load_dword v142, v49, s[20:23], 0 offen             // 000000004A0C: E0501000 80058E31
	buffer_load_dword v143, v49, s[20:23], 0 offen offset:64   // 000000004A14: E0501040 80058F31
	ds_read_b32 v65, v4 offset:21696                           // 000000004A1C: D86C54C0 41000004
	ds_read_b32 v66, v4 offset:21760                           // 000000004A24: D86C5500 42000004
	ds_read_b32 v67, v4 offset:21824                           // 000000004A2C: D86C5540 43000004
	ds_read_b32 v68, v4 offset:21888                           // 000000004A34: D86C5580 44000004
	ds_read_b32 v69, v4 offset:21952                           // 000000004A3C: D86C55C0 45000004
	ds_read_b32 v70, v4 offset:22016                           // 000000004A44: D86C5600 46000004
	ds_read_b32 v71, v4 offset:22080                           // 000000004A4C: D86C5640 47000004
	buffer_load_dword v144, v50, s[20:23], 0 offen             // 000000004A54: E0501000 80059032
	buffer_load_dword v145, v50, s[20:23], 0 offen offset:64   // 000000004A5C: E0501040 80059132
	s_waitcnt lgkmcnt(0)                                       // 000000004A64: BF8CC07F
	v_max3_f32 v8, v56, v57, v8                                // 000000004A68: D1D30008 04227338
	v_max3_f32 v8, v58, v59, v8                                // 000000004A70: D1D30008 0422773A
	v_max3_f32 v8, v60, v61, v8                                // 000000004A78: D1D30008 04227B3C
	v_max3_f32 v8, v62, v63, v8                                // 000000004A80: D1D30008 04227F3E
	v_max3_f32 v8, v64, v65, v8                                // 000000004A88: D1D30008 04228340
	v_max3_f32 v8, v66, v67, v8                                // 000000004A90: D1D30008 04228742
	v_max3_f32 v8, v68, v69, v8                                // 000000004A98: D1D30008 04228B44
	v_max3_f32 v8, v70, v71, v8                                // 000000004AA0: D1D30008 04228F46
	buffer_load_dword v146, v51, s[20:23], 0 offen             // 000000004AA8: E0501000 80059233
	buffer_load_dword v147, v51, s[20:23], 0 offen offset:64   // 000000004AB0: E0501040 80059333
	v_cmp_eq_u32_e64 s[34:35], v11, v12                        // 000000004AB8: D0CA0022 0002190B
	v_max_f32_e32 v13, v8, v12                                 // 000000004AC0: 161A1908
	v_sub_f32_e32 v18, v12, v13                                // 000000004AC4: 04241B0C
	v_cndmask_b32_e64 v18, v18, 0, s[34:35]                    // 000000004AC8: D1000012 00890112
	v_mov_b32_e32 v12, v13                                     // 000000004AD0: 7E18030D
	v_mul_f32_e32 v9, s5, v13                                  // 000000004AD4: 0A121A05
	v_mul_f32_e32 v18, s5, v18                                 // 000000004AD8: 0A242405
	v_exp_f32_e32 v18, v18                                     // 000000004ADC: 7E244112
	buffer_load_dword v148, v52, s[20:23], 0 offen             // 000000004AE0: E0501000 80059434
	buffer_load_dword v149, v52, s[20:23], 0 offen offset:64   // 000000004AE8: E0501040 80059534
	v_fma_f32 v88, v88, s5, -v9                                // 000000004AF0: D1CB0058 84240B58
	v_fma_f32 v89, v89, s5, -v9                                // 000000004AF8: D1CB0059 84240B59
	v_fma_f32 v90, v90, s5, -v9                                // 000000004B00: D1CB005A 84240B5A
	v_fma_f32 v91, v91, s5, -v9                                // 000000004B08: D1CB005B 84240B5B
	v_exp_f32_e32 v88, v88                                     // 000000004B10: 7EB04158
	v_exp_f32_e32 v89, v89                                     // 000000004B14: 7EB24159
	v_exp_f32_e32 v90, v90                                     // 000000004B18: 7EB4415A
	v_exp_f32_e32 v91, v91                                     // 000000004B1C: 7EB6415B
	buffer_load_dword v150, v53, s[20:23], 0 offen             // 000000004B20: E0501000 80059635
	buffer_load_dword v151, v53, s[20:23], 0 offen offset:64   // 000000004B28: E0501040 80059735
	v_mul_f32_e32 v14, v18, v14                                // 000000004B30: 0A1C1D12
	v_mov_b32_e32 v15, v88                                     // 000000004B34: 7E1E0358
	v_add_f32_e32 v15, v89, v15                                // 000000004B38: 021E1F59
	v_add_f32_e32 v15, v90, v15                                // 000000004B3C: 021E1F5A
	v_add_f32_e32 v15, v91, v15                                // 000000004B40: 021E1F5B
	v_add_f32_e32 v14, v15, v14                                // 000000004B44: 021C1D0F
	buffer_load_dword v152, v54, s[20:23], 0 offen             // 000000004B48: E0501000 80059836
	buffer_load_dword v153, v54, s[20:23], 0 offen offset:64   // 000000004B50: E0501040 80059936
	v_cvt_pk_fp8_f32 v88, v88, v89                             // 000000004B58: D2A20058 0002B358
	v_cvt_pk_fp8_f32 v88, v90, v91 op_sel:[0,0,1]              // 000000004B60: D2A24058 0002B75A
	ds_write_b32 v7, v88                                       // 000000004B68: D81A0000 00005807
	v_mov_b32_e32 v32, v18                                     // 000000004B70: 7E400312
	v_mov_b32_e32 v33, v18                                     // 000000004B74: 7E420312
	v_pk_mul_f32 v[92:93], v[32:33], v[92:93]                  // 000000004B78: D3B1405C 1802B920
	v_pk_mul_f32 v[94:95], v[32:33], v[94:95]                  // 000000004B80: D3B1405E 1802BD20
	v_pk_mul_f32 v[96:97], v[32:33], v[96:97]                  // 000000004B88: D3B14060 1802C120
	v_pk_mul_f32 v[98:99], v[32:33], v[98:99]                  // 000000004B90: D3B14062 1802C520
	v_pk_mul_f32 v[100:101], v[32:33], v[100:101]              // 000000004B98: D3B14064 1802C920
	v_pk_mul_f32 v[102:103], v[32:33], v[102:103]              // 000000004BA0: D3B14066 1802CD20
	v_pk_mul_f32 v[104:105], v[32:33], v[104:105]              // 000000004BA8: D3B14068 1802D120
	v_pk_mul_f32 v[106:107], v[32:33], v[106:107]              // 000000004BB0: D3B1406A 1802D520
	v_pk_mul_f32 v[108:109], v[32:33], v[108:109]              // 000000004BB8: D3B1406C 1802D920
	v_pk_mul_f32 v[110:111], v[32:33], v[110:111]              // 000000004BC0: D3B1406E 1802DD20
	v_pk_mul_f32 v[112:113], v[32:33], v[112:113]              // 000000004BC8: D3B14070 1802E120
	v_pk_mul_f32 v[114:115], v[32:33], v[114:115]              // 000000004BD0: D3B14072 1802E520
	v_pk_mul_f32 v[116:117], v[32:33], v[116:117]              // 000000004BD8: D3B14074 1802E920
	v_pk_mul_f32 v[118:119], v[32:33], v[118:119]              // 000000004BE0: D3B14076 1802ED20
	v_pk_mul_f32 v[120:121], v[32:33], v[120:121]              // 000000004BE8: D3B14078 1802F120
	v_pk_mul_f32 v[122:123], v[32:33], v[122:123]              // 000000004BF0: D3B1407A 1802F520
	buffer_load_dword v154, v55, s[20:23], 0 offen             // 000000004BF8: E0501000 80059A37
	buffer_load_dword v155, v55, s[20:23], 0 offen offset:64   // 000000004C00: E0501040 80059B37
	s_waitcnt lgkmcnt(0)                                       // 000000004C08: BF8CC07F
	s_barrier                                                  // 000000004C0C: BF8A0000
	ds_read_b64 v[88:89], v6                                   // 000000004C10: D8EC0000 58000006
	ds_read_b64 v[90:91], v6 offset:32                         // 000000004C18: D8EC0020 5A000006
	v_mul_u32_u24_dpp v40, v25, v10 row_newbcast:0 row_mask:0xf bank_mask:0xf// 000000004C20: 105014FA FF015019
	v_mul_u32_u24_dpp v41, v25, v10 row_newbcast:1 row_mask:0xf bank_mask:0xf// 000000004C28: 105214FA FF015119
	v_mul_u32_u24_dpp v42, v25, v10 row_newbcast:2 row_mask:0xf bank_mask:0xf// 000000004C30: 105414FA FF015219
	v_mul_u32_u24_dpp v43, v25, v10 row_newbcast:3 row_mask:0xf bank_mask:0xf// 000000004C38: 105614FA FF015319
	v_mul_u32_u24_dpp v44, v25, v10 row_newbcast:4 row_mask:0xf bank_mask:0xf// 000000004C40: 105814FA FF015419
	v_mul_u32_u24_dpp v45, v25, v10 row_newbcast:5 row_mask:0xf bank_mask:0xf// 000000004C48: 105A14FA FF015519
	v_mul_u32_u24_dpp v46, v25, v10 row_newbcast:6 row_mask:0xf bank_mask:0xf// 000000004C50: 105C14FA FF015619
	v_mul_u32_u24_dpp v47, v25, v10 row_newbcast:7 row_mask:0xf bank_mask:0xf// 000000004C58: 105E14FA FF015719
	v_mul_u32_u24_dpp v48, v25, v10 row_newbcast:8 row_mask:0xf bank_mask:0xf// 000000004C60: 106014FA FF015819
	v_mul_u32_u24_dpp v49, v25, v10 row_newbcast:9 row_mask:0xf bank_mask:0xf// 000000004C68: 106214FA FF015919
	v_mul_u32_u24_dpp v50, v25, v10 row_newbcast:10 row_mask:0xf bank_mask:0xf// 000000004C70: 106414FA FF015A19
	v_mul_u32_u24_dpp v51, v25, v10 row_newbcast:11 row_mask:0xf bank_mask:0xf// 000000004C78: 106614FA FF015B19
	v_mul_u32_u24_dpp v52, v25, v10 row_newbcast:12 row_mask:0xf bank_mask:0xf// 000000004C80: 106814FA FF015C19
	v_mul_u32_u24_dpp v53, v25, v10 row_newbcast:13 row_mask:0xf bank_mask:0xf// 000000004C88: 106A14FA FF015D19
	v_mul_u32_u24_dpp v54, v25, v10 row_newbcast:14 row_mask:0xf bank_mask:0xf// 000000004C90: 106C14FA FF015E19
	v_mul_u32_u24_dpp v55, v25, v10 row_newbcast:15 row_mask:0xf bank_mask:0xf// 000000004C98: 106E14FA FF015F19
	s_mov_b32 s56, m0                                          // 000000004CA0: BEB8007C
	s_set_gpr_idx_on s51, gpr_idx(SRC0)                        // 000000004CA4: BF110133
	v_add_u32_e32 v36, v40, v3                                 // 000000004CA8: 68480728
	v_add_u32_e32 v37, v41, v3                                 // 000000004CAC: 684A0729
	v_add_u32_e32 v38, v42, v3                                 // 000000004CB0: 684C072A
	v_add_u32_e32 v39, v43, v3                                 // 000000004CB4: 684E072B
	s_set_gpr_idx_off                                          // 000000004CB8: BF9C0000
	s_mov_b32 m0, s56                                          // 000000004CBC: BEFC0038
	v_add_u32_e32 v40, v40, v2                                 // 000000004CC0: 68500528
	v_add_u32_e32 v41, v41, v2                                 // 000000004CC4: 68520529
	v_add_u32_e32 v42, v42, v2                                 // 000000004CC8: 6854052A
	v_add_u32_e32 v43, v43, v2                                 // 000000004CCC: 6856052B
	v_add_u32_e32 v44, v44, v2                                 // 000000004CD0: 6858052C
	v_add_u32_e32 v45, v45, v2                                 // 000000004CD4: 685A052D
	v_add_u32_e32 v46, v46, v2                                 // 000000004CD8: 685C052E
	v_add_u32_e32 v47, v47, v2                                 // 000000004CDC: 685E052F
	v_add_u32_e32 v48, v48, v2                                 // 000000004CE0: 68600530
	v_add_u32_e32 v49, v49, v2                                 // 000000004CE4: 68620531
	v_add_u32_e32 v50, v50, v2                                 // 000000004CE8: 68640532
	v_add_u32_e32 v51, v51, v2                                 // 000000004CEC: 68660533
	v_add_u32_e32 v52, v52, v2                                 // 000000004CF0: 68680534
	v_add_u32_e32 v53, v53, v2                                 // 000000004CF4: 686A0535
	v_add_u32_e32 v54, v54, v2                                 // 000000004CF8: 686C0536
	v_add_u32_e32 v55, v55, v2                                 // 000000004CFC: 686E0537
	s_waitcnt lgkmcnt(0)                                       // 000000004D00: BF8CC07F
	s_waitcnt vmcnt(37)                                        // 000000004D04: BF8C8F75
	v_mfma_f32_16x16x32_fp8_fp8 v[92:95], a[108:109], v[88:89], v[92:95]// 000000004D08: D3F3005C 0D72B16C
	ds_write_b32 v20, v172                                     // 000000004D10: D81A0000 0000AC14
	ds_write_b32 v20, v173 offset:64                           // 000000004D18: D81A0040 0000AD14
	v_mfma_f32_16x16x32_fp8_fp8 v[92:95], a[110:111], v[90:91], v[92:95]// 000000004D20: D3F3005C 0D72B56E
	v_mfma_f32_16x16x32_fp8_fp8 v[96:99], a[112:113], v[88:89], v[96:99]// 000000004D28: D3F30060 0D82B170
	ds_write_b32 v20, v174 offset:4128                         // 000000004D30: D81A1020 0000AE14
	ds_write_b32 v20, v175 offset:4192                         // 000000004D38: D81A1060 0000AF14
	v_mfma_f32_16x16x32_fp8_fp8 v[96:99], a[114:115], v[90:91], v[96:99]// 000000004D40: D3F30060 0D82B572
	v_mfma_f32_16x16x32_fp8_fp8 v[100:103], a[116:117], v[88:89], v[100:103]// 000000004D48: D3F30064 0D92B174
	ds_write_b32 v20, v176 offset:8256                         // 000000004D50: D81A2040 0000B014
	ds_write_b32 v20, v177 offset:8320                         // 000000004D58: D81A2080 0000B114
	v_mfma_f32_16x16x32_fp8_fp8 v[100:103], a[118:119], v[90:91], v[100:103]// 000000004D60: D3F30064 0D92B576
	v_mfma_f32_16x16x32_fp8_fp8 v[104:107], a[120:121], v[88:89], v[104:107]// 000000004D68: D3F30068 0DA2B178
	ds_write_b32 v20, v178 offset:12384                        // 000000004D70: D81A3060 0000B214
	ds_write_b32 v20, v179 offset:12448                        // 000000004D78: D81A30A0 0000B314
	v_mfma_f32_16x16x32_fp8_fp8 v[104:107], a[122:123], v[90:91], v[104:107]// 000000004D80: D3F30068 0DA2B57A
	v_mfma_f32_16x16x32_fp8_fp8 v[108:111], a[124:125], v[88:89], v[108:111]// 000000004D88: D3F3006C 0DB2B17C
	ds_write_b32 v20, v180 offset:512                          // 000000004D90: D81A0200 0000B414
	ds_write_b32 v20, v181 offset:576                          // 000000004D98: D81A0240 0000B514
	v_mfma_f32_16x16x32_fp8_fp8 v[108:111], a[126:127], v[90:91], v[108:111]// 000000004DA0: D3F3006C 0DB2B57E
	v_mfma_f32_16x16x32_fp8_fp8 v[112:115], a[128:129], v[88:89], v[112:115]// 000000004DA8: D3F30070 0DC2B180
	ds_write_b32 v20, v182 offset:4640                         // 000000004DB0: D81A1220 0000B614
	ds_write_b32 v20, v183 offset:4704                         // 000000004DB8: D81A1260 0000B714
	v_mfma_f32_16x16x32_fp8_fp8 v[112:115], a[130:131], v[90:91], v[112:115]// 000000004DC0: D3F30070 0DC2B582
	v_mfma_f32_16x16x32_fp8_fp8 v[116:119], a[132:133], v[88:89], v[116:119]// 000000004DC8: D3F30074 0DD2B184
	ds_write_b32 v20, v184 offset:8768                         // 000000004DD0: D81A2240 0000B814
	ds_write_b32 v20, v185 offset:8832                         // 000000004DD8: D81A2280 0000B914
	v_mfma_f32_16x16x32_fp8_fp8 v[116:119], a[134:135], v[90:91], v[116:119]// 000000004DE0: D3F30074 0DD2B586
	v_mfma_f32_16x16x32_fp8_fp8 v[120:123], a[136:137], v[88:89], v[120:123]// 000000004DE8: D3F30078 0DE2B188
	ds_write_b32 v20, v186 offset:12896                        // 000000004DF0: D81A3260 0000BA14
	ds_write_b32 v20, v187 offset:12960                        // 000000004DF8: D81A32A0 0000BB14
	v_mfma_f32_16x16x32_fp8_fp8 v[120:123], a[138:139], v[90:91], v[120:123]// 000000004E00: D3F30078 0DE2B58A
	ds_read_b64 a[104:105], v23 offset:16512                   // 000000004E08: DAEC4080 68000017
	ds_read_b64 a[106:107], v23 offset:16520                   // 000000004E10: DAEC4088 6A000017
	s_waitcnt lgkmcnt(4)                                       // 000000004E18: BF8CC47F
	s_barrier                                                  // 000000004E1C: BF8A0000
	ds_read_b128 a[72:75], v22                                 // 000000004E20: DBFE0000 48000016
	ds_read_b128 a[76:79], v22 offset:64                       // 000000004E28: DBFE0040 4C000016
	ds_read_b128 a[80:83], v22 offset:128                      // 000000004E30: DBFE0080 50000016
	ds_read_b128 a[84:87], v22 offset:192                      // 000000004E38: DBFE00C0 54000016
	ds_read_b128 a[88:91], v22 offset:256                      // 000000004E40: DBFE0100 58000016
	ds_read_b128 a[92:95], v22 offset:320                      // 000000004E48: DBFE0140 5C000016
	ds_read_b128 a[96:99], v22 offset:384                      // 000000004E50: DBFE0180 60000016
	ds_read_b128 a[100:103], v22 offset:448                    // 000000004E58: DBFE01C0 64000016
	v_perm_b32 v32, v158, v156, s54                            // 000000004E60: D1ED0020 00DB399E
	v_perm_b32 v33, v158, v156, s55                            // 000000004E68: D1ED0021 00DF399E
	v_perm_b32 v34, v162, v160, s54                            // 000000004E70: D1ED0022 00DB41A2
	v_perm_b32 v35, v162, v160, s55                            // 000000004E78: D1ED0023 00DF41A2
	v_perm_b32 v56, v34, v32, s53                              // 000000004E80: D1ED0038 00D64122
	v_perm_b32 v57, v34, v32, s52                              // 000000004E88: D1ED0039 00D24122
	v_perm_b32 v58, v35, v33, s53                              // 000000004E90: D1ED003A 00D64323
	v_perm_b32 v59, v35, v33, s52                              // 000000004E98: D1ED003B 00D24323
	v_accvgpr_write_b32 a108, v56                              // 000000004EA0: D3D9406C 18000138
	v_accvgpr_write_b32 a112, v57                              // 000000004EA8: D3D94070 18000139
	v_accvgpr_write_b32 a116, v58                              // 000000004EB0: D3D94074 1800013A
	v_accvgpr_write_b32 a120, v59                              // 000000004EB8: D3D94078 1800013B
	v_perm_b32 v32, v166, v164, s54                            // 000000004EC0: D1ED0020 00DB49A6
	v_perm_b32 v33, v166, v164, s55                            // 000000004EC8: D1ED0021 00DF49A6
	v_perm_b32 v34, v170, v168, s54                            // 000000004ED0: D1ED0022 00DB51AA
	v_perm_b32 v35, v170, v168, s55                            // 000000004ED8: D1ED0023 00DF51AA
	v_perm_b32 v56, v34, v32, s53                              // 000000004EE0: D1ED0038 00D64122
	v_perm_b32 v57, v34, v32, s52                              // 000000004EE8: D1ED0039 00D24122
	v_perm_b32 v58, v35, v33, s53                              // 000000004EF0: D1ED003A 00D64323
	v_perm_b32 v59, v35, v33, s52                              // 000000004EF8: D1ED003B 00D24323
	v_accvgpr_write_b32 a109, v56                              // 000000004F00: D3D9406D 18000138
	v_accvgpr_write_b32 a113, v57                              // 000000004F08: D3D94071 18000139
	v_accvgpr_write_b32 a117, v58                              // 000000004F10: D3D94075 1800013A
	v_accvgpr_write_b32 a121, v59                              // 000000004F18: D3D94079 1800013B
	v_perm_b32 v32, v174, v172, s54                            // 000000004F20: D1ED0020 00DB59AE
	v_perm_b32 v33, v174, v172, s55                            // 000000004F28: D1ED0021 00DF59AE
	v_perm_b32 v34, v178, v176, s54                            // 000000004F30: D1ED0022 00DB61B2
	v_perm_b32 v35, v178, v176, s55                            // 000000004F38: D1ED0023 00DF61B2
	v_perm_b32 v56, v34, v32, s53                              // 000000004F40: D1ED0038 00D64122
	v_perm_b32 v57, v34, v32, s52                              // 000000004F48: D1ED0039 00D24122
	v_perm_b32 v58, v35, v33, s53                              // 000000004F50: D1ED003A 00D64323
	v_perm_b32 v59, v35, v33, s52                              // 000000004F58: D1ED003B 00D24323
	v_accvgpr_write_b32 a110, v56                              // 000000004F60: D3D9406E 18000138
	v_accvgpr_write_b32 a114, v57                              // 000000004F68: D3D94072 18000139
	v_accvgpr_write_b32 a118, v58                              // 000000004F70: D3D94076 1800013A
	v_accvgpr_write_b32 a122, v59                              // 000000004F78: D3D9407A 1800013B
	v_perm_b32 v32, v182, v180, s54                            // 000000004F80: D1ED0020 00DB69B6
	v_perm_b32 v33, v182, v180, s55                            // 000000004F88: D1ED0021 00DF69B6
	v_perm_b32 v34, v186, v184, s54                            // 000000004F90: D1ED0022 00DB71BA
	v_perm_b32 v35, v186, v184, s55                            // 000000004F98: D1ED0023 00DF71BA
	v_perm_b32 v56, v34, v32, s53                              // 000000004FA0: D1ED0038 00D64122
	v_perm_b32 v57, v34, v32, s52                              // 000000004FA8: D1ED0039 00D24122
	v_perm_b32 v58, v35, v33, s53                              // 000000004FB0: D1ED003A 00D64323
	v_perm_b32 v59, v35, v33, s52                              // 000000004FB8: D1ED003B 00D24323
	v_accvgpr_write_b32 a111, v56                              // 000000004FC0: D3D9406F 18000138
	v_accvgpr_write_b32 a115, v57                              // 000000004FC8: D3D94073 18000139
	v_accvgpr_write_b32 a119, v58                              // 000000004FD0: D3D94077 1800013A
	v_accvgpr_write_b32 a123, v59                              // 000000004FD8: D3D9407B 1800013B
	v_perm_b32 v32, v159, v157, s54                            // 000000004FE0: D1ED0020 00DB3B9F
	v_perm_b32 v33, v159, v157, s55                            // 000000004FE8: D1ED0021 00DF3B9F
	v_perm_b32 v34, v163, v161, s54                            // 000000004FF0: D1ED0022 00DB43A3
	v_perm_b32 v35, v163, v161, s55                            // 000000004FF8: D1ED0023 00DF43A3
	v_perm_b32 v56, v34, v32, s53                              // 000000005000: D1ED0038 00D64122
	v_perm_b32 v57, v34, v32, s52                              // 000000005008: D1ED0039 00D24122
	v_perm_b32 v58, v35, v33, s53                              // 000000005010: D1ED003A 00D64323
	v_perm_b32 v59, v35, v33, s52                              // 000000005018: D1ED003B 00D24323
	v_accvgpr_write_b32 a124, v56                              // 000000005020: D3D9407C 18000138
	v_accvgpr_write_b32 a128, v57                              // 000000005028: D3D94080 18000139
	v_accvgpr_write_b32 a132, v58                              // 000000005030: D3D94084 1800013A
	v_accvgpr_write_b32 a136, v59                              // 000000005038: D3D94088 1800013B
	v_perm_b32 v32, v167, v165, s54                            // 000000005040: D1ED0020 00DB4BA7
	v_perm_b32 v33, v167, v165, s55                            // 000000005048: D1ED0021 00DF4BA7
	v_perm_b32 v34, v171, v169, s54                            // 000000005050: D1ED0022 00DB53AB
	v_perm_b32 v35, v171, v169, s55                            // 000000005058: D1ED0023 00DF53AB
	v_perm_b32 v56, v34, v32, s53                              // 000000005060: D1ED0038 00D64122
	v_perm_b32 v57, v34, v32, s52                              // 000000005068: D1ED0039 00D24122
	v_perm_b32 v58, v35, v33, s53                              // 000000005070: D1ED003A 00D64323
	v_perm_b32 v59, v35, v33, s52                              // 000000005078: D1ED003B 00D24323
	v_accvgpr_write_b32 a125, v56                              // 000000005080: D3D9407D 18000138
	v_accvgpr_write_b32 a129, v57                              // 000000005088: D3D94081 18000139
	v_accvgpr_write_b32 a133, v58                              // 000000005090: D3D94085 1800013A
	v_accvgpr_write_b32 a137, v59                              // 000000005098: D3D94089 1800013B
	v_perm_b32 v32, v175, v173, s54                            // 0000000050A0: D1ED0020 00DB5BAF
	v_perm_b32 v33, v175, v173, s55                            // 0000000050A8: D1ED0021 00DF5BAF
	v_perm_b32 v34, v179, v177, s54                            // 0000000050B0: D1ED0022 00DB63B3
	v_perm_b32 v35, v179, v177, s55                            // 0000000050B8: D1ED0023 00DF63B3
	v_perm_b32 v56, v34, v32, s53                              // 0000000050C0: D1ED0038 00D64122
	v_perm_b32 v57, v34, v32, s52                              // 0000000050C8: D1ED0039 00D24122
	v_perm_b32 v58, v35, v33, s53                              // 0000000050D0: D1ED003A 00D64323
	v_perm_b32 v59, v35, v33, s52                              // 0000000050D8: D1ED003B 00D24323
	v_accvgpr_write_b32 a126, v56                              // 0000000050E0: D3D9407E 18000138
	v_accvgpr_write_b32 a130, v57                              // 0000000050E8: D3D94082 18000139
	v_accvgpr_write_b32 a134, v58                              // 0000000050F0: D3D94086 1800013A
	v_accvgpr_write_b32 a138, v59                              // 0000000050F8: D3D9408A 1800013B
	v_perm_b32 v32, v183, v181, s54                            // 000000005100: D1ED0020 00DB6BB7
	v_perm_b32 v33, v183, v181, s55                            // 000000005108: D1ED0021 00DF6BB7
	v_perm_b32 v34, v187, v185, s54                            // 000000005110: D1ED0022 00DB73BB
	v_perm_b32 v35, v187, v185, s55                            // 000000005118: D1ED0023 00DF73BB
	v_perm_b32 v56, v34, v32, s53                              // 000000005120: D1ED0038 00D64122
	v_perm_b32 v57, v34, v32, s52                              // 000000005128: D1ED0039 00D24122
	v_perm_b32 v58, v35, v33, s53                              // 000000005130: D1ED003A 00D64323
	v_perm_b32 v59, v35, v33, s52                              // 000000005138: D1ED003B 00D24323
	v_accvgpr_write_b32 a127, v56                              // 000000005140: D3D9407F 18000138
	v_accvgpr_write_b32 a131, v57                              // 000000005148: D3D94083 18000139
	v_accvgpr_write_b32 a135, v58                              // 000000005150: D3D94087 1800013A
	v_accvgpr_write_b32 a139, v59                              // 000000005158: D3D9408B 1800013B
	s_addk_i32 s70, 0x1                                        // 000000005160: B7460001
	s_cmp_lt_i32 s70, s71                                      // 000000005164: BF044746
	s_cbranch_scc0 label_0926                                  // 000000005168: BF84FD8B
	s_waitcnt vmcnt(16) lgkmcnt(0)                             // 00000000516C: BF8C4070
	s_barrier                                                  // 000000005170: BF8A0000
	v_mfma_f32_16x16x32_fp8_fp8 v[88:91], a[72:73], a[0:1], 0  // 000000005174: D3F30058 1A020148
	buffer_load_dword v156, v40, s[20:23], 0 offen             // 00000000517C: E0501000 80059C28
	buffer_load_dword v157, v40, s[20:23], 0 offen offset:64   // 000000005184: E0501040 80059D28
	v_mfma_f32_16x16x32_fp8_fp8 v[88:91], a[74:75], a[2:3], v[88:91]// 00000000518C: D3F30058 1D62054A
	ds_write_b32 v20, v124                                     // 000000005194: D81A0000 00007C14
	ds_write_b32 v20, v125 offset:64                           // 00000000519C: D81A0040 00007D14
	v_mfma_f32_16x16x32_fp8_fp8 v[88:91], a[76:77], a[4:5], v[88:91]// 0000000051A4: D3F30058 1D62094C
	buffer_load_dword v25, v26, s[24:27], 0 offen              // 0000000051AC: E0501000 8006191A
	v_mfma_f32_16x16x32_fp8_fp8 v[88:91], a[78:79], a[6:7], v[88:91]// 0000000051B4: D3F30058 1D620D4E
	ds_write_b32 v20, v126 offset:4128                         // 0000000051BC: D81A1020 00007E14
	ds_write_b32 v20, v127 offset:4192                         // 0000000051C4: D81A1060 00007F14
	v_mfma_f32_16x16x32_fp8_fp8 v[88:91], a[80:81], a[8:9], v[88:91]// 0000000051CC: D3F30058 1D621150
	buffer_load_dword v158, v41, s[20:23], 0 offen             // 0000000051D4: E0501000 80059E29
	buffer_load_dword v159, v41, s[20:23], 0 offen offset:64   // 0000000051DC: E0501040 80059F29
	v_mfma_f32_16x16x32_fp8_fp8 v[88:91], a[82:83], a[10:11], v[88:91]// 0000000051E4: D3F30058 1D621552
	ds_write_b32 v20, v128 offset:8256                         // 0000000051EC: D81A2040 00008014
	ds_write_b32 v20, v129 offset:8320                         // 0000000051F4: D81A2080 00008114
	v_mfma_f32_16x16x32_fp8_fp8 v[88:91], a[84:85], a[12:13], v[88:91]// 0000000051FC: D3F30058 1D621954
	v_mfma_f32_16x16x32_fp8_fp8 v[88:91], a[86:87], a[14:15], v[88:91]// 000000005204: D3F30058 1D621D56
	ds_write_b32 v20, v130 offset:12384                        // 00000000520C: D81A3060 00008214
	ds_write_b32 v20, v131 offset:12448                        // 000000005214: D81A30A0 00008314
	v_mfma_f32_16x16x32_fp8_fp8 v[88:91], a[88:89], a[16:17], v[88:91]// 00000000521C: D3F30058 1D622158
	buffer_load_dword v160, v42, s[20:23], 0 offen             // 000000005224: E0501000 8005A02A
	buffer_load_dword v161, v42, s[20:23], 0 offen offset:64   // 00000000522C: E0501040 8005A12A
	v_mfma_f32_16x16x32_fp8_fp8 v[88:91], a[90:91], a[18:19], v[88:91]// 000000005234: D3F30058 1D62255A
	ds_write_b32 v20, v132 offset:512                          // 00000000523C: D81A0200 00008414
	ds_write_b32 v20, v133 offset:576                          // 000000005244: D81A0240 00008514
	v_mfma_f32_16x16x32_fp8_fp8 v[88:91], a[92:93], a[20:21], v[88:91]// 00000000524C: D3F30058 1D62295C
	v_mfma_f32_16x16x32_fp8_fp8 v[88:91], a[94:95], a[22:23], v[88:91]// 000000005254: D3F30058 1D622D5E
	ds_write_b32 v20, v134 offset:4640                         // 00000000525C: D81A1220 00008614
	ds_write_b32 v20, v135 offset:4704                         // 000000005264: D81A1260 00008714
	v_mfma_f32_16x16x32_fp8_fp8 v[88:91], a[96:97], a[24:25], v[88:91]// 00000000526C: D3F30058 1D623160
	buffer_load_dword v162, v43, s[20:23], 0 offen             // 000000005274: E0501000 8005A22B
	buffer_load_dword v163, v43, s[20:23], 0 offen offset:64   // 00000000527C: E0501040 8005A32B
	v_mfma_f32_16x16x32_fp8_fp8 v[88:91], a[98:99], a[26:27], v[88:91]// 000000005284: D3F30058 1D623562
	ds_write_b32 v20, v136 offset:8768                         // 00000000528C: D81A2240 00008814
	ds_write_b32 v20, v137 offset:8832                         // 000000005294: D81A2280 00008914
	v_mfma_f32_16x16x32_fp8_fp8 v[88:91], a[100:101], a[28:29], v[88:91]// 00000000529C: D3F30058 1D623964
	v_mfma_f32_16x16x32_fp8_fp8 v[88:91], a[102:103], a[30:31], v[88:91]// 0000000052A4: D3F30058 1D623D66
	ds_write_b32 v20, v138 offset:12896                        // 0000000052AC: D81A3260 00008A14
	ds_write_b32 v20, v139 offset:12960                        // 0000000052B4: D81A32A0 00008B14
	v_mfma_f32_16x16x32_fp8_fp8 v[88:91], a[104:105], a[32:33], v[88:91]// 0000000052BC: D3F30058 1D624168
	buffer_load_dword v164, v44, s[20:23], 0 offen             // 0000000052C4: E0501000 8005A42C
	buffer_load_dword v165, v44, s[20:23], 0 offen offset:64   // 0000000052CC: E0501040 8005A52C
	v_mfma_f32_16x16x32_fp8_fp8 v[88:91], a[106:107], a[34:35], v[88:91]// 0000000052D4: D3F30058 1D62456A
	buffer_load_dword v166, v45, s[20:23], 0 offen             // 0000000052DC: E0501000 8005A62D
	buffer_load_dword v167, v45, s[20:23], 0 offen offset:64   // 0000000052E4: E0501040 8005A72D
	buffer_load_dword v168, v46, s[20:23], 0 offen             // 0000000052EC: E0501000 8005A82E
	buffer_load_dword v169, v46, s[20:23], 0 offen offset:64   // 0000000052F4: E0501040 8005A92E
	buffer_load_dword v170, v47, s[20:23], 0 offen             // 0000000052FC: E0501000 8005AA2F
	buffer_load_dword v171, v47, s[20:23], 0 offen offset:64   // 000000005304: E0501040 8005AB2F
	ds_write_b32 v21, v72 offset:16512                         // 00000000530C: D81A4080 00004815
	ds_write_b32 v21, v73 offset:16584                         // 000000005314: D81A40C8 00004915
	ds_write_b32 v21, v74 offset:16656                         // 00000000531C: D81A4110 00004A15
	ds_write_b32 v21, v75 offset:16728                         // 000000005324: D81A4158 00004B15
	s_waitcnt lgkmcnt(4)                                       // 00000000532C: BF8CC47F
	s_barrier                                                  // 000000005330: BF8A0000
	v_add_u32_e32 v26, s73, v26                                // 000000005334: 68343449
	buffer_load_dword v80, v36, s[20:23], 0 offen              // 000000005338: E0501000 80055024
	buffer_load_dword v81, v37, s[20:23], 0 offen              // 000000005340: E0501000 80055125
	v_mov_b32_e32 v8, v88                                      // 000000005348: 7E100358
	v_max3_f32 v8, v88, v89, v8                                // 00000000534C: D1D30008 0422B358
	v_max3_f32 v8, v90, v91, v8                                // 000000005354: D1D30008 0422B75A
	ds_write_b32 v5, v8 offset:21120                           // 00000000535C: D81A5280 00000805
	buffer_load_dword v82, v38, s[20:23], 0 offen              // 000000005364: E0501000 80055226
	buffer_load_dword v83, v39, s[20:23], 0 offen              // 00000000536C: E0501000 80055327
	buffer_load_dword v172, v48, s[20:23], 0 offen             // 000000005374: E0501000 8005AC30
	buffer_load_dword v173, v48, s[20:23], 0 offen offset:64   // 00000000537C: E0501040 8005AD30
	s_waitcnt lgkmcnt(0)                                       // 000000005384: BF8CC07F
	s_barrier                                                  // 000000005388: BF8A0000
	ds_read_b32 v56, v4 offset:21120                           // 00000000538C: D86C5280 38000004
	ds_read_b32 v57, v4 offset:21184                           // 000000005394: D86C52C0 39000004
	ds_read_b32 v58, v4 offset:21248                           // 00000000539C: D86C5300 3A000004
	ds_read_b32 v59, v4 offset:21312                           // 0000000053A4: D86C5340 3B000004
	ds_read_b32 v60, v4 offset:21376                           // 0000000053AC: D86C5380 3C000004
	ds_read_b32 v61, v4 offset:21440                           // 0000000053B4: D86C53C0 3D000004
	ds_read_b32 v62, v4 offset:21504                           // 0000000053BC: D86C5400 3E000004
	ds_read_b32 v63, v4 offset:21568                           // 0000000053C4: D86C5440 3F000004
	ds_read_b32 v64, v4 offset:21632                           // 0000000053CC: D86C5480 40000004
	buffer_load_dword v174, v49, s[20:23], 0 offen             // 0000000053D4: E0501000 8005AE31
	buffer_load_dword v175, v49, s[20:23], 0 offen offset:64   // 0000000053DC: E0501040 8005AF31
	ds_read_b32 v65, v4 offset:21696                           // 0000000053E4: D86C54C0 41000004
	ds_read_b32 v66, v4 offset:21760                           // 0000000053EC: D86C5500 42000004
	ds_read_b32 v67, v4 offset:21824                           // 0000000053F4: D86C5540 43000004
	ds_read_b32 v68, v4 offset:21888                           // 0000000053FC: D86C5580 44000004
	ds_read_b32 v69, v4 offset:21952                           // 000000005404: D86C55C0 45000004
	ds_read_b32 v70, v4 offset:22016                           // 00000000540C: D86C5600 46000004
	ds_read_b32 v71, v4 offset:22080                           // 000000005414: D86C5640 47000004
	buffer_load_dword v176, v50, s[20:23], 0 offen             // 00000000541C: E0501000 8005B032
	buffer_load_dword v177, v50, s[20:23], 0 offen offset:64   // 000000005424: E0501040 8005B132
	s_waitcnt lgkmcnt(0)                                       // 00000000542C: BF8CC07F
	v_max3_f32 v8, v56, v57, v8                                // 000000005430: D1D30008 04227338
	v_max3_f32 v8, v58, v59, v8                                // 000000005438: D1D30008 0422773A
	v_max3_f32 v8, v60, v61, v8                                // 000000005440: D1D30008 04227B3C
	v_max3_f32 v8, v62, v63, v8                                // 000000005448: D1D30008 04227F3E
	v_max3_f32 v8, v64, v65, v8                                // 000000005450: D1D30008 04228340
	v_max3_f32 v8, v66, v67, v8                                // 000000005458: D1D30008 04228742
	v_max3_f32 v8, v68, v69, v8                                // 000000005460: D1D30008 04228B44
	v_max3_f32 v8, v70, v71, v8                                // 000000005468: D1D30008 04228F46
	buffer_load_dword v178, v51, s[20:23], 0 offen             // 000000005470: E0501000 8005B233
	buffer_load_dword v179, v51, s[20:23], 0 offen offset:64   // 000000005478: E0501040 8005B333
	v_cmp_eq_u32_e64 s[34:35], v11, v12                        // 000000005480: D0CA0022 0002190B
	v_max_f32_e32 v13, v8, v12                                 // 000000005488: 161A1908
	v_sub_f32_e32 v18, v12, v13                                // 00000000548C: 04241B0C
	v_cndmask_b32_e64 v18, v18, 0, s[34:35]                    // 000000005490: D1000012 00890112
	v_mov_b32_e32 v12, v13                                     // 000000005498: 7E18030D
	v_mul_f32_e32 v9, s5, v13                                  // 00000000549C: 0A121A05
	v_mul_f32_e32 v18, s5, v18                                 // 0000000054A0: 0A242405
	v_exp_f32_e32 v18, v18                                     // 0000000054A4: 7E244112
	buffer_load_dword v180, v52, s[20:23], 0 offen             // 0000000054A8: E0501000 8005B434
	buffer_load_dword v181, v52, s[20:23], 0 offen offset:64   // 0000000054B0: E0501040 8005B534
	v_fma_f32 v88, v88, s5, -v9                                // 0000000054B8: D1CB0058 84240B58
	v_fma_f32 v89, v89, s5, -v9                                // 0000000054C0: D1CB0059 84240B59
	v_fma_f32 v90, v90, s5, -v9                                // 0000000054C8: D1CB005A 84240B5A
	v_fma_f32 v91, v91, s5, -v9                                // 0000000054D0: D1CB005B 84240B5B
	v_exp_f32_e32 v88, v88                                     // 0000000054D8: 7EB04158
	v_exp_f32_e32 v89, v89                                     // 0000000054DC: 7EB24159
	v_exp_f32_e32 v90, v90                                     // 0000000054E0: 7EB4415A
	v_exp_f32_e32 v91, v91                                     // 0000000054E4: 7EB6415B
	buffer_load_dword v182, v53, s[20:23], 0 offen             // 0000000054E8: E0501000 8005B635
	buffer_load_dword v183, v53, s[20:23], 0 offen offset:64   // 0000000054F0: E0501040 8005B735
	v_mul_f32_e32 v14, v18, v14                                // 0000000054F8: 0A1C1D12
	v_mov_b32_e32 v15, v88                                     // 0000000054FC: 7E1E0358
	v_add_f32_e32 v15, v89, v15                                // 000000005500: 021E1F59
	v_add_f32_e32 v15, v90, v15                                // 000000005504: 021E1F5A
	v_add_f32_e32 v15, v91, v15                                // 000000005508: 021E1F5B
	v_add_f32_e32 v14, v15, v14                                // 00000000550C: 021C1D0F
	buffer_load_dword v184, v54, s[20:23], 0 offen             // 000000005510: E0501000 8005B836
	buffer_load_dword v185, v54, s[20:23], 0 offen offset:64   // 000000005518: E0501040 8005B936
	v_cvt_pk_fp8_f32 v88, v88, v89                             // 000000005520: D2A20058 0002B358
	v_cvt_pk_fp8_f32 v88, v90, v91 op_sel:[0,0,1]              // 000000005528: D2A24058 0002B75A
	ds_write_b32 v7, v88                                       // 000000005530: D81A0000 00005807
	v_mov_b32_e32 v32, v18                                     // 000000005538: 7E400312
	v_mov_b32_e32 v33, v18                                     // 00000000553C: 7E420312
	v_pk_mul_f32 v[92:93], v[32:33], v[92:93]                  // 000000005540: D3B1405C 1802B920
	v_pk_mul_f32 v[94:95], v[32:33], v[94:95]                  // 000000005548: D3B1405E 1802BD20
	v_pk_mul_f32 v[96:97], v[32:33], v[96:97]                  // 000000005550: D3B14060 1802C120
	v_pk_mul_f32 v[98:99], v[32:33], v[98:99]                  // 000000005558: D3B14062 1802C520
	v_pk_mul_f32 v[100:101], v[32:33], v[100:101]              // 000000005560: D3B14064 1802C920
	v_pk_mul_f32 v[102:103], v[32:33], v[102:103]              // 000000005568: D3B14066 1802CD20
	v_pk_mul_f32 v[104:105], v[32:33], v[104:105]              // 000000005570: D3B14068 1802D120
	v_pk_mul_f32 v[106:107], v[32:33], v[106:107]              // 000000005578: D3B1406A 1802D520
	v_pk_mul_f32 v[108:109], v[32:33], v[108:109]              // 000000005580: D3B1406C 1802D920
	v_pk_mul_f32 v[110:111], v[32:33], v[110:111]              // 000000005588: D3B1406E 1802DD20
	v_pk_mul_f32 v[112:113], v[32:33], v[112:113]              // 000000005590: D3B14070 1802E120
	v_pk_mul_f32 v[114:115], v[32:33], v[114:115]              // 000000005598: D3B14072 1802E520
	v_pk_mul_f32 v[116:117], v[32:33], v[116:117]              // 0000000055A0: D3B14074 1802E920
	v_pk_mul_f32 v[118:119], v[32:33], v[118:119]              // 0000000055A8: D3B14076 1802ED20
	v_pk_mul_f32 v[120:121], v[32:33], v[120:121]              // 0000000055B0: D3B14078 1802F120
	v_pk_mul_f32 v[122:123], v[32:33], v[122:123]              // 0000000055B8: D3B1407A 1802F520
	buffer_load_dword v186, v55, s[20:23], 0 offen             // 0000000055C0: E0501000 8005BA37
	buffer_load_dword v187, v55, s[20:23], 0 offen offset:64   // 0000000055C8: E0501040 8005BB37
	s_waitcnt lgkmcnt(0)                                       // 0000000055D0: BF8CC07F
	s_barrier                                                  // 0000000055D4: BF8A0000
	ds_read_b64 v[88:89], v6                                   // 0000000055D8: D8EC0000 58000006
	ds_read_b64 v[90:91], v6 offset:32                         // 0000000055E0: D8EC0020 5A000006
	v_mul_u32_u24_dpp v40, v24, v10 row_newbcast:0 row_mask:0xf bank_mask:0xf// 0000000055E8: 105014FA FF015018
	v_mul_u32_u24_dpp v41, v24, v10 row_newbcast:1 row_mask:0xf bank_mask:0xf// 0000000055F0: 105214FA FF015118
	v_mul_u32_u24_dpp v42, v24, v10 row_newbcast:2 row_mask:0xf bank_mask:0xf// 0000000055F8: 105414FA FF015218
	v_mul_u32_u24_dpp v43, v24, v10 row_newbcast:3 row_mask:0xf bank_mask:0xf// 000000005600: 105614FA FF015318
	v_mul_u32_u24_dpp v44, v24, v10 row_newbcast:4 row_mask:0xf bank_mask:0xf// 000000005608: 105814FA FF015418
	v_mul_u32_u24_dpp v45, v24, v10 row_newbcast:5 row_mask:0xf bank_mask:0xf// 000000005610: 105A14FA FF015518
	v_mul_u32_u24_dpp v46, v24, v10 row_newbcast:6 row_mask:0xf bank_mask:0xf// 000000005618: 105C14FA FF015618
	v_mul_u32_u24_dpp v47, v24, v10 row_newbcast:7 row_mask:0xf bank_mask:0xf// 000000005620: 105E14FA FF015718
	v_mul_u32_u24_dpp v48, v24, v10 row_newbcast:8 row_mask:0xf bank_mask:0xf// 000000005628: 106014FA FF015818
	v_mul_u32_u24_dpp v49, v24, v10 row_newbcast:9 row_mask:0xf bank_mask:0xf// 000000005630: 106214FA FF015918
	v_mul_u32_u24_dpp v50, v24, v10 row_newbcast:10 row_mask:0xf bank_mask:0xf// 000000005638: 106414FA FF015A18
	v_mul_u32_u24_dpp v51, v24, v10 row_newbcast:11 row_mask:0xf bank_mask:0xf// 000000005640: 106614FA FF015B18
	v_mul_u32_u24_dpp v52, v24, v10 row_newbcast:12 row_mask:0xf bank_mask:0xf// 000000005648: 106814FA FF015C18
	v_mul_u32_u24_dpp v53, v24, v10 row_newbcast:13 row_mask:0xf bank_mask:0xf// 000000005650: 106A14FA FF015D18
	v_mul_u32_u24_dpp v54, v24, v10 row_newbcast:14 row_mask:0xf bank_mask:0xf// 000000005658: 106C14FA FF015E18
	v_mul_u32_u24_dpp v55, v24, v10 row_newbcast:15 row_mask:0xf bank_mask:0xf// 000000005660: 106E14FA FF015F18
	s_mov_b32 s56, m0                                          // 000000005668: BEB8007C
	s_set_gpr_idx_on s51, gpr_idx(SRC0)                        // 00000000566C: BF110133
	v_add_u32_e32 v36, v40, v3                                 // 000000005670: 68480728
	v_add_u32_e32 v37, v41, v3                                 // 000000005674: 684A0729
	v_add_u32_e32 v38, v42, v3                                 // 000000005678: 684C072A
	v_add_u32_e32 v39, v43, v3                                 // 00000000567C: 684E072B
	s_set_gpr_idx_off                                          // 000000005680: BF9C0000
	s_mov_b32 m0, s56                                          // 000000005684: BEFC0038
	v_add_u32_e32 v40, v40, v2                                 // 000000005688: 68500528
	v_add_u32_e32 v41, v41, v2                                 // 00000000568C: 68520529
	v_add_u32_e32 v42, v42, v2                                 // 000000005690: 6854052A
	v_add_u32_e32 v43, v43, v2                                 // 000000005694: 6856052B
	v_add_u32_e32 v44, v44, v2                                 // 000000005698: 6858052C
	v_add_u32_e32 v45, v45, v2                                 // 00000000569C: 685A052D
	v_add_u32_e32 v46, v46, v2                                 // 0000000056A0: 685C052E
	v_add_u32_e32 v47, v47, v2                                 // 0000000056A4: 685E052F
	v_add_u32_e32 v48, v48, v2                                 // 0000000056A8: 68600530
	v_add_u32_e32 v49, v49, v2                                 // 0000000056AC: 68620531
	v_add_u32_e32 v50, v50, v2                                 // 0000000056B0: 68640532
	v_add_u32_e32 v51, v51, v2                                 // 0000000056B4: 68660533
	v_add_u32_e32 v52, v52, v2                                 // 0000000056B8: 68680534
	v_add_u32_e32 v53, v53, v2                                 // 0000000056BC: 686A0535
	v_add_u32_e32 v54, v54, v2                                 // 0000000056C0: 686C0536
	v_add_u32_e32 v55, v55, v2                                 // 0000000056C4: 686E0537
	s_waitcnt lgkmcnt(0)                                       // 0000000056C8: BF8CC07F
	s_waitcnt vmcnt(37)                                        // 0000000056CC: BF8C8F75
	v_mfma_f32_16x16x32_fp8_fp8 v[92:95], a[108:109], v[88:89], v[92:95]// 0000000056D0: D3F3005C 0D72B16C
	ds_write_b32 v20, v140                                     // 0000000056D8: D81A0000 00008C14
	ds_write_b32 v20, v141 offset:64                           // 0000000056E0: D81A0040 00008D14
	v_mfma_f32_16x16x32_fp8_fp8 v[92:95], a[110:111], v[90:91], v[92:95]// 0000000056E8: D3F3005C 0D72B56E
	v_mfma_f32_16x16x32_fp8_fp8 v[96:99], a[112:113], v[88:89], v[96:99]// 0000000056F0: D3F30060 0D82B170
	ds_write_b32 v20, v142 offset:4128                         // 0000000056F8: D81A1020 00008E14
	ds_write_b32 v20, v143 offset:4192                         // 000000005700: D81A1060 00008F14
	v_mfma_f32_16x16x32_fp8_fp8 v[96:99], a[114:115], v[90:91], v[96:99]// 000000005708: D3F30060 0D82B572
	v_mfma_f32_16x16x32_fp8_fp8 v[100:103], a[116:117], v[88:89], v[100:103]// 000000005710: D3F30064 0D92B174
	ds_write_b32 v20, v144 offset:8256                         // 000000005718: D81A2040 00009014
	ds_write_b32 v20, v145 offset:8320                         // 000000005720: D81A2080 00009114
	v_mfma_f32_16x16x32_fp8_fp8 v[100:103], a[118:119], v[90:91], v[100:103]// 000000005728: D3F30064 0D92B576
	v_mfma_f32_16x16x32_fp8_fp8 v[104:107], a[120:121], v[88:89], v[104:107]// 000000005730: D3F30068 0DA2B178
	ds_write_b32 v20, v146 offset:12384                        // 000000005738: D81A3060 00009214
	ds_write_b32 v20, v147 offset:12448                        // 000000005740: D81A30A0 00009314
	v_mfma_f32_16x16x32_fp8_fp8 v[104:107], a[122:123], v[90:91], v[104:107]// 000000005748: D3F30068 0DA2B57A
	v_mfma_f32_16x16x32_fp8_fp8 v[108:111], a[124:125], v[88:89], v[108:111]// 000000005750: D3F3006C 0DB2B17C
	ds_write_b32 v20, v148 offset:512                          // 000000005758: D81A0200 00009414
	ds_write_b32 v20, v149 offset:576                          // 000000005760: D81A0240 00009514
	v_mfma_f32_16x16x32_fp8_fp8 v[108:111], a[126:127], v[90:91], v[108:111]// 000000005768: D3F3006C 0DB2B57E
	v_mfma_f32_16x16x32_fp8_fp8 v[112:115], a[128:129], v[88:89], v[112:115]// 000000005770: D3F30070 0DC2B180
	ds_write_b32 v20, v150 offset:4640                         // 000000005778: D81A1220 00009614
	ds_write_b32 v20, v151 offset:4704                         // 000000005780: D81A1260 00009714
	v_mfma_f32_16x16x32_fp8_fp8 v[112:115], a[130:131], v[90:91], v[112:115]// 000000005788: D3F30070 0DC2B582
	v_mfma_f32_16x16x32_fp8_fp8 v[116:119], a[132:133], v[88:89], v[116:119]// 000000005790: D3F30074 0DD2B184
	ds_write_b32 v20, v152 offset:8768                         // 000000005798: D81A2240 00009814
	ds_write_b32 v20, v153 offset:8832                         // 0000000057A0: D81A2280 00009914
	v_mfma_f32_16x16x32_fp8_fp8 v[116:119], a[134:135], v[90:91], v[116:119]// 0000000057A8: D3F30074 0DD2B586
	v_mfma_f32_16x16x32_fp8_fp8 v[120:123], a[136:137], v[88:89], v[120:123]// 0000000057B0: D3F30078 0DE2B188
	ds_write_b32 v20, v154 offset:12896                        // 0000000057B8: D81A3260 00009A14
	ds_write_b32 v20, v155 offset:12960                        // 0000000057C0: D81A32A0 00009B14
	v_mfma_f32_16x16x32_fp8_fp8 v[120:123], a[138:139], v[90:91], v[120:123]// 0000000057C8: D3F30078 0DE2B58A
	ds_read_b64 a[104:105], v23 offset:16512                   // 0000000057D0: DAEC4080 68000017
	ds_read_b64 a[106:107], v23 offset:16520                   // 0000000057D8: DAEC4088 6A000017
	s_waitcnt lgkmcnt(4)                                       // 0000000057E0: BF8CC47F
	s_barrier                                                  // 0000000057E4: BF8A0000
	ds_read_b128 a[72:75], v22                                 // 0000000057E8: DBFE0000 48000016
	ds_read_b128 a[76:79], v22 offset:64                       // 0000000057F0: DBFE0040 4C000016
	ds_read_b128 a[80:83], v22 offset:128                      // 0000000057F8: DBFE0080 50000016
	ds_read_b128 a[84:87], v22 offset:192                      // 000000005800: DBFE00C0 54000016
	ds_read_b128 a[88:91], v22 offset:256                      // 000000005808: DBFE0100 58000016
	ds_read_b128 a[92:95], v22 offset:320                      // 000000005810: DBFE0140 5C000016
	ds_read_b128 a[96:99], v22 offset:384                      // 000000005818: DBFE0180 60000016
	ds_read_b128 a[100:103], v22 offset:448                    // 000000005820: DBFE01C0 64000016
	v_perm_b32 v32, v126, v124, s54                            // 000000005828: D1ED0020 00DAF97E
	v_perm_b32 v33, v126, v124, s55                            // 000000005830: D1ED0021 00DEF97E
	v_perm_b32 v34, v130, v128, s54                            // 000000005838: D1ED0022 00DB0182
	v_perm_b32 v35, v130, v128, s55                            // 000000005840: D1ED0023 00DF0182
	v_perm_b32 v56, v34, v32, s53                              // 000000005848: D1ED0038 00D64122
	v_perm_b32 v57, v34, v32, s52                              // 000000005850: D1ED0039 00D24122
	v_perm_b32 v58, v35, v33, s53                              // 000000005858: D1ED003A 00D64323
	v_perm_b32 v59, v35, v33, s52                              // 000000005860: D1ED003B 00D24323
	v_accvgpr_write_b32 a108, v56                              // 000000005868: D3D9406C 18000138
	v_accvgpr_write_b32 a112, v57                              // 000000005870: D3D94070 18000139
	v_accvgpr_write_b32 a116, v58                              // 000000005878: D3D94074 1800013A
	v_accvgpr_write_b32 a120, v59                              // 000000005880: D3D94078 1800013B
	v_perm_b32 v32, v134, v132, s54                            // 000000005888: D1ED0020 00DB0986
	v_perm_b32 v33, v134, v132, s55                            // 000000005890: D1ED0021 00DF0986
	v_perm_b32 v34, v138, v136, s54                            // 000000005898: D1ED0022 00DB118A
	v_perm_b32 v35, v138, v136, s55                            // 0000000058A0: D1ED0023 00DF118A
	v_perm_b32 v56, v34, v32, s53                              // 0000000058A8: D1ED0038 00D64122
	v_perm_b32 v57, v34, v32, s52                              // 0000000058B0: D1ED0039 00D24122
	v_perm_b32 v58, v35, v33, s53                              // 0000000058B8: D1ED003A 00D64323
	v_perm_b32 v59, v35, v33, s52                              // 0000000058C0: D1ED003B 00D24323
	v_accvgpr_write_b32 a109, v56                              // 0000000058C8: D3D9406D 18000138
	v_accvgpr_write_b32 a113, v57                              // 0000000058D0: D3D94071 18000139
	v_accvgpr_write_b32 a117, v58                              // 0000000058D8: D3D94075 1800013A
	v_accvgpr_write_b32 a121, v59                              // 0000000058E0: D3D94079 1800013B
	v_perm_b32 v32, v142, v140, s54                            // 0000000058E8: D1ED0020 00DB198E
	v_perm_b32 v33, v142, v140, s55                            // 0000000058F0: D1ED0021 00DF198E
	v_perm_b32 v34, v146, v144, s54                            // 0000000058F8: D1ED0022 00DB2192
	v_perm_b32 v35, v146, v144, s55                            // 000000005900: D1ED0023 00DF2192
	v_perm_b32 v56, v34, v32, s53                              // 000000005908: D1ED0038 00D64122
	v_perm_b32 v57, v34, v32, s52                              // 000000005910: D1ED0039 00D24122
	v_perm_b32 v58, v35, v33, s53                              // 000000005918: D1ED003A 00D64323
	v_perm_b32 v59, v35, v33, s52                              // 000000005920: D1ED003B 00D24323
	v_accvgpr_write_b32 a110, v56                              // 000000005928: D3D9406E 18000138
	v_accvgpr_write_b32 a114, v57                              // 000000005930: D3D94072 18000139
	v_accvgpr_write_b32 a118, v58                              // 000000005938: D3D94076 1800013A
	v_accvgpr_write_b32 a122, v59                              // 000000005940: D3D9407A 1800013B
	v_perm_b32 v32, v150, v148, s54                            // 000000005948: D1ED0020 00DB2996
	v_perm_b32 v33, v150, v148, s55                            // 000000005950: D1ED0021 00DF2996
	v_perm_b32 v34, v154, v152, s54                            // 000000005958: D1ED0022 00DB319A
	v_perm_b32 v35, v154, v152, s55                            // 000000005960: D1ED0023 00DF319A
	v_perm_b32 v56, v34, v32, s53                              // 000000005968: D1ED0038 00D64122
	v_perm_b32 v57, v34, v32, s52                              // 000000005970: D1ED0039 00D24122
	v_perm_b32 v58, v35, v33, s53                              // 000000005978: D1ED003A 00D64323
	v_perm_b32 v59, v35, v33, s52                              // 000000005980: D1ED003B 00D24323
	v_accvgpr_write_b32 a111, v56                              // 000000005988: D3D9406F 18000138
	v_accvgpr_write_b32 a115, v57                              // 000000005990: D3D94073 18000139
	v_accvgpr_write_b32 a119, v58                              // 000000005998: D3D94077 1800013A
	v_accvgpr_write_b32 a123, v59                              // 0000000059A0: D3D9407B 1800013B
	v_perm_b32 v32, v127, v125, s54                            // 0000000059A8: D1ED0020 00DAFB7F
	v_perm_b32 v33, v127, v125, s55                            // 0000000059B0: D1ED0021 00DEFB7F
	v_perm_b32 v34, v131, v129, s54                            // 0000000059B8: D1ED0022 00DB0383
	v_perm_b32 v35, v131, v129, s55                            // 0000000059C0: D1ED0023 00DF0383
	v_perm_b32 v56, v34, v32, s53                              // 0000000059C8: D1ED0038 00D64122
	v_perm_b32 v57, v34, v32, s52                              // 0000000059D0: D1ED0039 00D24122
	v_perm_b32 v58, v35, v33, s53                              // 0000000059D8: D1ED003A 00D64323
	v_perm_b32 v59, v35, v33, s52                              // 0000000059E0: D1ED003B 00D24323
	v_accvgpr_write_b32 a124, v56                              // 0000000059E8: D3D9407C 18000138
	v_accvgpr_write_b32 a128, v57                              // 0000000059F0: D3D94080 18000139
	v_accvgpr_write_b32 a132, v58                              // 0000000059F8: D3D94084 1800013A
	v_accvgpr_write_b32 a136, v59                              // 000000005A00: D3D94088 1800013B
	v_perm_b32 v32, v135, v133, s54                            // 000000005A08: D1ED0020 00DB0B87
	v_perm_b32 v33, v135, v133, s55                            // 000000005A10: D1ED0021 00DF0B87
	v_perm_b32 v34, v139, v137, s54                            // 000000005A18: D1ED0022 00DB138B
	v_perm_b32 v35, v139, v137, s55                            // 000000005A20: D1ED0023 00DF138B
	v_perm_b32 v56, v34, v32, s53                              // 000000005A28: D1ED0038 00D64122
	v_perm_b32 v57, v34, v32, s52                              // 000000005A30: D1ED0039 00D24122
	v_perm_b32 v58, v35, v33, s53                              // 000000005A38: D1ED003A 00D64323
	v_perm_b32 v59, v35, v33, s52                              // 000000005A40: D1ED003B 00D24323
	v_accvgpr_write_b32 a125, v56                              // 000000005A48: D3D9407D 18000138
	v_accvgpr_write_b32 a129, v57                              // 000000005A50: D3D94081 18000139
	v_accvgpr_write_b32 a133, v58                              // 000000005A58: D3D94085 1800013A
	v_accvgpr_write_b32 a137, v59                              // 000000005A60: D3D94089 1800013B
	v_perm_b32 v32, v143, v141, s54                            // 000000005A68: D1ED0020 00DB1B8F
	v_perm_b32 v33, v143, v141, s55                            // 000000005A70: D1ED0021 00DF1B8F
	v_perm_b32 v34, v147, v145, s54                            // 000000005A78: D1ED0022 00DB2393
	v_perm_b32 v35, v147, v145, s55                            // 000000005A80: D1ED0023 00DF2393
	v_perm_b32 v56, v34, v32, s53                              // 000000005A88: D1ED0038 00D64122
	v_perm_b32 v57, v34, v32, s52                              // 000000005A90: D1ED0039 00D24122
	v_perm_b32 v58, v35, v33, s53                              // 000000005A98: D1ED003A 00D64323
	v_perm_b32 v59, v35, v33, s52                              // 000000005AA0: D1ED003B 00D24323
	v_accvgpr_write_b32 a126, v56                              // 000000005AA8: D3D9407E 18000138
	v_accvgpr_write_b32 a130, v57                              // 000000005AB0: D3D94082 18000139
	v_accvgpr_write_b32 a134, v58                              // 000000005AB8: D3D94086 1800013A
	v_accvgpr_write_b32 a138, v59                              // 000000005AC0: D3D9408A 1800013B
	v_perm_b32 v32, v151, v149, s54                            // 000000005AC8: D1ED0020 00DB2B97
	v_perm_b32 v33, v151, v149, s55                            // 000000005AD0: D1ED0021 00DF2B97
	v_perm_b32 v34, v155, v153, s54                            // 000000005AD8: D1ED0022 00DB339B
	v_perm_b32 v35, v155, v153, s55                            // 000000005AE0: D1ED0023 00DF339B
	v_perm_b32 v56, v34, v32, s53                              // 000000005AE8: D1ED0038 00D64122
	v_perm_b32 v57, v34, v32, s52                              // 000000005AF0: D1ED0039 00D24122
	v_perm_b32 v58, v35, v33, s53                              // 000000005AF8: D1ED003A 00D64323
	v_perm_b32 v59, v35, v33, s52                              // 000000005B00: D1ED003B 00D24323
	v_accvgpr_write_b32 a127, v56                              // 000000005B08: D3D9407F 18000138
	v_accvgpr_write_b32 a131, v57                              // 000000005B10: D3D94083 18000139
	v_accvgpr_write_b32 a135, v58                              // 000000005B18: D3D94087 1800013A
	v_accvgpr_write_b32 a139, v59                              // 000000005B20: D3D9408B 1800013B
	s_addk_i32 s70, 0x1                                        // 000000005B28: B7460001
	s_cmp_lt_i32 s70, s71                                      // 000000005B2C: BF044746
	s_cbranch_scc0 label_0926                                  // 000000005B30: BF84FB19
	s_branch label_0929                                        // 000000005B34: BF82FB1B

0000000000005b38 <label_0E0E>:
	s_cmp_eq_i32 s48, 0                                        // 000000005B38: BF008030
	s_cbranch_scc1 label_1089                                  // 000000005B3C: BF850257

0000000000005b40 <label_0E10>:
	s_and_b32 s56, s71, 1                                      // 000000005B40: 86388147
	s_cmp_eq_i32 s56, 1                                        // 000000005B44: BF008138
	s_cbranch_scc1 label_0F3D                                  // 000000005B48: BF85012A
	s_waitcnt vmcnt(0) expcnt(0) lgkmcnt(0)                    // 000000005B4C: BF8C0000
	s_barrier                                                  // 000000005B50: BF8A0000
	v_mfma_f32_16x16x32_fp8_fp8 v[88:91], a[72:73], a[0:1], 0  // 000000005B54: D3F30058 1A020148
	v_mfma_f32_16x16x32_fp8_fp8 v[88:91], a[74:75], a[2:3], v[88:91]// 000000005B5C: D3F30058 1D62054A
	v_mfma_f32_16x16x32_fp8_fp8 v[88:91], a[76:77], a[4:5], v[88:91]// 000000005B64: D3F30058 1D62094C
	v_mfma_f32_16x16x32_fp8_fp8 v[88:91], a[78:79], a[6:7], v[88:91]// 000000005B6C: D3F30058 1D620D4E
	v_mfma_f32_16x16x32_fp8_fp8 v[88:91], a[80:81], a[8:9], v[88:91]// 000000005B74: D3F30058 1D621150
	v_mfma_f32_16x16x32_fp8_fp8 v[88:91], a[82:83], a[10:11], v[88:91]// 000000005B7C: D3F30058 1D621552
	v_mfma_f32_16x16x32_fp8_fp8 v[88:91], a[84:85], a[12:13], v[88:91]// 000000005B84: D3F30058 1D621954
	v_mfma_f32_16x16x32_fp8_fp8 v[88:91], a[86:87], a[14:15], v[88:91]// 000000005B8C: D3F30058 1D621D56
	v_mfma_f32_16x16x32_fp8_fp8 v[88:91], a[88:89], a[16:17], v[88:91]// 000000005B94: D3F30058 1D622158
	v_mfma_f32_16x16x32_fp8_fp8 v[88:91], a[90:91], a[18:19], v[88:91]// 000000005B9C: D3F30058 1D62255A
	v_mfma_f32_16x16x32_fp8_fp8 v[88:91], a[92:93], a[20:21], v[88:91]// 000000005BA4: D3F30058 1D62295C
	v_mfma_f32_16x16x32_fp8_fp8 v[88:91], a[94:95], a[22:23], v[88:91]// 000000005BAC: D3F30058 1D622D5E
	v_mfma_f32_16x16x32_fp8_fp8 v[88:91], a[96:97], a[24:25], v[88:91]// 000000005BB4: D3F30058 1D623160
	v_mfma_f32_16x16x32_fp8_fp8 v[88:91], a[98:99], a[26:27], v[88:91]// 000000005BBC: D3F30058 1D623562
	v_mfma_f32_16x16x32_fp8_fp8 v[88:91], a[100:101], a[28:29], v[88:91]// 000000005BC4: D3F30058 1D623964
	v_mfma_f32_16x16x32_fp8_fp8 v[88:91], a[102:103], a[30:31], v[88:91]// 000000005BCC: D3F30058 1D623D66
	v_mfma_f32_16x16x32_fp8_fp8 v[88:91], a[104:105], a[32:33], v[88:91]// 000000005BD4: D3F30058 1D624168
	v_mfma_f32_16x16x32_fp8_fp8 v[88:91], a[106:107], a[34:35], v[88:91]// 000000005BDC: D3F30058 1D62456A
	s_nop 8                                                    // 000000005BE4: BF800008
	s_and_b32 s56, s48, 0xff                                   // 000000005BE8: 8638FF30 000000FF
	v_mov_b32_e32 v43, s56                                     // 000000005BF0: 7E560238
	v_lshrrev_b32_e32 v44, 4, v0                               // 000000005BF4: 20580084
	v_mul_i32_i24_e32 v44, 4, v44                              // 000000005BF8: 0C585884
	s_mul_i32 s56, s7, 16                                      // 000000005BFC: 92389007
	v_add_u32_e32 v44, s56, v44                                // 000000005C00: 68585838
	v_add_u32_e32 v45, 1, v44                                  // 000000005C04: 685A5881
	v_add_u32_e32 v46, 2, v44                                  // 000000005C08: 685C5882
	v_add_u32_e32 v47, 3, v44                                  // 000000005C0C: 685E5883
	v_cmp_lt_u32_e64 s[34:35], v44, v43                        // 000000005C10: D0C90022 0002572C
	v_add_u32_e32 v44, 64, v44                                 // 000000005C18: 685858C0
	s_nop 0                                                    // 000000005C1C: BF800000
	v_cndmask_b32_e64 v88, v11, v88, s[34:35]                  // 000000005C20: D1000058 008AB10B
	v_cmp_lt_u32_e64 s[34:35], v45, v43                        // 000000005C28: D0C90022 0002572D
	v_add_u32_e32 v45, 64, v45                                 // 000000005C30: 685A5AC0
	s_nop 0                                                    // 000000005C34: BF800000
	v_cndmask_b32_e64 v89, v11, v89, s[34:35]                  // 000000005C38: D1000059 008AB30B
	v_cmp_lt_u32_e64 s[34:35], v46, v43                        // 000000005C40: D0C90022 0002572E
	v_add_u32_e32 v46, 64, v46                                 // 000000005C48: 685C5CC0
	s_nop 0                                                    // 000000005C4C: BF800000
	v_cndmask_b32_e64 v90, v11, v90, s[34:35]                  // 000000005C50: D100005A 008AB50B
	v_cmp_lt_u32_e64 s[34:35], v47, v43                        // 000000005C58: D0C90022 0002572F
	v_add_u32_e32 v47, 64, v47                                 // 000000005C60: 685E5EC0
	s_nop 0                                                    // 000000005C64: BF800000
	v_cndmask_b32_e64 v91, v11, v91, s[34:35]                  // 000000005C68: D100005B 008AB70B
	v_mov_b32_e32 v8, v88                                      // 000000005C70: 7E100358
	v_max3_f32 v8, v88, v89, v8                                // 000000005C74: D1D30008 0422B358
	v_max3_f32 v8, v90, v91, v8                                // 000000005C7C: D1D30008 0422B75A
	ds_write_b32 v5, v8 offset:21120                           // 000000005C84: D81A5280 00000805
	s_waitcnt lgkmcnt(0)                                       // 000000005C8C: BF8CC07F
	s_barrier                                                  // 000000005C90: BF8A0000
	ds_read_b32 v56, v4 offset:21120                           // 000000005C94: D86C5280 38000004
	ds_read_b32 v57, v4 offset:21184                           // 000000005C9C: D86C52C0 39000004
	ds_read_b32 v58, v4 offset:21248                           // 000000005CA4: D86C5300 3A000004
	ds_read_b32 v59, v4 offset:21312                           // 000000005CAC: D86C5340 3B000004
	ds_read_b32 v60, v4 offset:21376                           // 000000005CB4: D86C5380 3C000004
	ds_read_b32 v61, v4 offset:21440                           // 000000005CBC: D86C53C0 3D000004
	ds_read_b32 v62, v4 offset:21504                           // 000000005CC4: D86C5400 3E000004
	ds_read_b32 v63, v4 offset:21568                           // 000000005CCC: D86C5440 3F000004
	ds_read_b32 v64, v4 offset:21632                           // 000000005CD4: D86C5480 40000004
	ds_read_b32 v65, v4 offset:21696                           // 000000005CDC: D86C54C0 41000004
	ds_read_b32 v66, v4 offset:21760                           // 000000005CE4: D86C5500 42000004
	ds_read_b32 v67, v4 offset:21824                           // 000000005CEC: D86C5540 43000004
	ds_read_b32 v68, v4 offset:21888                           // 000000005CF4: D86C5580 44000004
	ds_read_b32 v69, v4 offset:21952                           // 000000005CFC: D86C55C0 45000004
	ds_read_b32 v70, v4 offset:22016                           // 000000005D04: D86C5600 46000004
	ds_read_b32 v71, v4 offset:22080                           // 000000005D0C: D86C5640 47000004
	s_waitcnt lgkmcnt(0)                                       // 000000005D14: BF8CC07F
	v_max3_f32 v8, v56, v57, v8                                // 000000005D18: D1D30008 04227338
	v_max3_f32 v8, v58, v59, v8                                // 000000005D20: D1D30008 0422773A
	v_max3_f32 v8, v60, v61, v8                                // 000000005D28: D1D30008 04227B3C
	v_max3_f32 v8, v62, v63, v8                                // 000000005D30: D1D30008 04227F3E
	v_max3_f32 v8, v64, v65, v8                                // 000000005D38: D1D30008 04228340
	v_max3_f32 v8, v66, v67, v8                                // 000000005D40: D1D30008 04228742
	v_max3_f32 v8, v68, v69, v8                                // 000000005D48: D1D30008 04228B44
	v_max3_f32 v8, v70, v71, v8                                // 000000005D50: D1D30008 04228F46
	v_cmp_eq_u32_e64 s[34:35], v11, v12                        // 000000005D58: D0CA0022 0002190B
	v_max_f32_e32 v13, v8, v12                                 // 000000005D60: 161A1908
	v_sub_f32_e32 v18, v12, v13                                // 000000005D64: 04241B0C
	v_cndmask_b32_e64 v18, v18, 0, s[34:35]                    // 000000005D68: D1000012 00890112
	v_mov_b32_e32 v12, v13                                     // 000000005D70: 7E18030D
	v_mul_f32_e32 v9, s5, v13                                  // 000000005D74: 0A121A05
	v_mul_f32_e32 v18, s5, v18                                 // 000000005D78: 0A242405
	v_exp_f32_e32 v18, v18                                     // 000000005D7C: 7E244112
	v_fma_f32 v88, v88, s5, -v9                                // 000000005D80: D1CB0058 84240B58
	v_fma_f32 v89, v89, s5, -v9                                // 000000005D88: D1CB0059 84240B59
	v_fma_f32 v90, v90, s5, -v9                                // 000000005D90: D1CB005A 84240B5A
	v_fma_f32 v91, v91, s5, -v9                                // 000000005D98: D1CB005B 84240B5B
	v_exp_f32_e32 v88, v88                                     // 000000005DA0: 7EB04158
	v_exp_f32_e32 v89, v89                                     // 000000005DA4: 7EB24159
	v_exp_f32_e32 v90, v90                                     // 000000005DA8: 7EB4415A
	v_exp_f32_e32 v91, v91                                     // 000000005DAC: 7EB6415B
	v_mul_f32_e32 v14, v18, v14                                // 000000005DB0: 0A1C1D12
	v_mov_b32_e32 v15, v88                                     // 000000005DB4: 7E1E0358
	v_add_f32_e32 v15, v89, v15                                // 000000005DB8: 021E1F59
	v_add_f32_e32 v15, v90, v15                                // 000000005DBC: 021E1F5A
	v_add_f32_e32 v15, v91, v15                                // 000000005DC0: 021E1F5B
	v_add_f32_e32 v14, v15, v14                                // 000000005DC4: 021C1D0F
	v_cvt_pk_fp8_f32 v88, v88, v89                             // 000000005DC8: D2A20058 0002B358
	v_cvt_pk_fp8_f32 v88, v90, v91 op_sel:[0,0,1]              // 000000005DD0: D2A24058 0002B75A
	ds_write_b32 v7, v88                                       // 000000005DD8: D81A0000 00005807
	v_mov_b32_e32 v32, v18                                     // 000000005DE0: 7E400312
	v_mov_b32_e32 v33, v18                                     // 000000005DE4: 7E420312
	v_pk_mul_f32 v[92:93], v[32:33], v[92:93]                  // 000000005DE8: D3B1405C 1802B920
	v_pk_mul_f32 v[94:95], v[32:33], v[94:95]                  // 000000005DF0: D3B1405E 1802BD20
	v_pk_mul_f32 v[96:97], v[32:33], v[96:97]                  // 000000005DF8: D3B14060 1802C120
	v_pk_mul_f32 v[98:99], v[32:33], v[98:99]                  // 000000005E00: D3B14062 1802C520
	v_pk_mul_f32 v[100:101], v[32:33], v[100:101]              // 000000005E08: D3B14064 1802C920
	v_pk_mul_f32 v[102:103], v[32:33], v[102:103]              // 000000005E10: D3B14066 1802CD20
	v_pk_mul_f32 v[104:105], v[32:33], v[104:105]              // 000000005E18: D3B14068 1802D120
	v_pk_mul_f32 v[106:107], v[32:33], v[106:107]              // 000000005E20: D3B1406A 1802D520
	v_pk_mul_f32 v[108:109], v[32:33], v[108:109]              // 000000005E28: D3B1406C 1802D920
	v_pk_mul_f32 v[110:111], v[32:33], v[110:111]              // 000000005E30: D3B1406E 1802DD20
	v_pk_mul_f32 v[112:113], v[32:33], v[112:113]              // 000000005E38: D3B14070 1802E120
	v_pk_mul_f32 v[114:115], v[32:33], v[114:115]              // 000000005E40: D3B14072 1802E520
	v_pk_mul_f32 v[116:117], v[32:33], v[116:117]              // 000000005E48: D3B14074 1802E920
	v_pk_mul_f32 v[118:119], v[32:33], v[118:119]              // 000000005E50: D3B14076 1802ED20
	v_pk_mul_f32 v[120:121], v[32:33], v[120:121]              // 000000005E58: D3B14078 1802F120
	v_pk_mul_f32 v[122:123], v[32:33], v[122:123]              // 000000005E60: D3B1407A 1802F520
	s_waitcnt lgkmcnt(0)                                       // 000000005E68: BF8CC07F
	s_barrier                                                  // 000000005E6C: BF8A0000
	ds_read_b64 v[88:89], v6                                   // 000000005E70: D8EC0000 58000006
	ds_read_b64 v[90:91], v6 offset:32                         // 000000005E78: D8EC0020 5A000006
	v_mul_u32_u24_dpp v40, v25, v10 row_newbcast:0 row_mask:0xf bank_mask:0xf// 000000005E80: 105014FA FF015019
	v_mul_u32_u24_dpp v41, v25, v10 row_newbcast:1 row_mask:0xf bank_mask:0xf// 000000005E88: 105214FA FF015119
	v_mul_u32_u24_dpp v42, v25, v10 row_newbcast:2 row_mask:0xf bank_mask:0xf// 000000005E90: 105414FA FF015219
	v_mul_u32_u24_dpp v43, v25, v10 row_newbcast:3 row_mask:0xf bank_mask:0xf// 000000005E98: 105614FA FF015319
	v_mul_u32_u24_dpp v44, v25, v10 row_newbcast:4 row_mask:0xf bank_mask:0xf// 000000005EA0: 105814FA FF015419
	v_mul_u32_u24_dpp v45, v25, v10 row_newbcast:5 row_mask:0xf bank_mask:0xf// 000000005EA8: 105A14FA FF015519
	v_mul_u32_u24_dpp v46, v25, v10 row_newbcast:6 row_mask:0xf bank_mask:0xf// 000000005EB0: 105C14FA FF015619
	v_mul_u32_u24_dpp v47, v25, v10 row_newbcast:7 row_mask:0xf bank_mask:0xf// 000000005EB8: 105E14FA FF015719
	v_mul_u32_u24_dpp v48, v25, v10 row_newbcast:8 row_mask:0xf bank_mask:0xf// 000000005EC0: 106014FA FF015819
	v_mul_u32_u24_dpp v49, v25, v10 row_newbcast:9 row_mask:0xf bank_mask:0xf// 000000005EC8: 106214FA FF015919
	v_mul_u32_u24_dpp v50, v25, v10 row_newbcast:10 row_mask:0xf bank_mask:0xf// 000000005ED0: 106414FA FF015A19
	v_mul_u32_u24_dpp v51, v25, v10 row_newbcast:11 row_mask:0xf bank_mask:0xf// 000000005ED8: 106614FA FF015B19
	v_mul_u32_u24_dpp v52, v25, v10 row_newbcast:12 row_mask:0xf bank_mask:0xf// 000000005EE0: 106814FA FF015C19
	v_mul_u32_u24_dpp v53, v25, v10 row_newbcast:13 row_mask:0xf bank_mask:0xf// 000000005EE8: 106A14FA FF015D19
	v_mul_u32_u24_dpp v54, v25, v10 row_newbcast:14 row_mask:0xf bank_mask:0xf// 000000005EF0: 106C14FA FF015E19
	v_mul_u32_u24_dpp v55, v25, v10 row_newbcast:15 row_mask:0xf bank_mask:0xf// 000000005EF8: 106E14FA FF015F19
	s_mov_b32 s56, m0                                          // 000000005F00: BEB8007C
	s_set_gpr_idx_on s51, gpr_idx(SRC0)                        // 000000005F04: BF110133
	v_add_u32_e32 v36, v40, v3                                 // 000000005F08: 68480728
	v_add_u32_e32 v37, v41, v3                                 // 000000005F0C: 684A0729
	v_add_u32_e32 v38, v42, v3                                 // 000000005F10: 684C072A
	v_add_u32_e32 v39, v43, v3                                 // 000000005F14: 684E072B
	s_set_gpr_idx_off                                          // 000000005F18: BF9C0000
	s_mov_b32 m0, s56                                          // 000000005F1C: BEFC0038
	v_add_u32_e32 v40, v40, v2                                 // 000000005F20: 68500528
	v_add_u32_e32 v41, v41, v2                                 // 000000005F24: 68520529
	v_add_u32_e32 v42, v42, v2                                 // 000000005F28: 6854052A
	v_add_u32_e32 v43, v43, v2                                 // 000000005F2C: 6856052B
	v_add_u32_e32 v44, v44, v2                                 // 000000005F30: 6858052C
	v_add_u32_e32 v45, v45, v2                                 // 000000005F34: 685A052D
	v_add_u32_e32 v46, v46, v2                                 // 000000005F38: 685C052E
	v_add_u32_e32 v47, v47, v2                                 // 000000005F3C: 685E052F
	v_add_u32_e32 v48, v48, v2                                 // 000000005F40: 68600530
	v_add_u32_e32 v49, v49, v2                                 // 000000005F44: 68620531
	v_add_u32_e32 v50, v50, v2                                 // 000000005F48: 68640532
	v_add_u32_e32 v51, v51, v2                                 // 000000005F4C: 68660533
	v_add_u32_e32 v52, v52, v2                                 // 000000005F50: 68680534
	v_add_u32_e32 v53, v53, v2                                 // 000000005F54: 686A0535
	v_add_u32_e32 v54, v54, v2                                 // 000000005F58: 686C0536
	v_add_u32_e32 v55, v55, v2                                 // 000000005F5C: 686E0537
	s_waitcnt lgkmcnt(0)                                       // 000000005F60: BF8CC07F
	s_waitcnt vmcnt(0)                                         // 000000005F64: BF8C0F70
	s_barrier                                                  // 000000005F68: BF8A0000
	v_mfma_f32_16x16x32_fp8_fp8 v[92:95], a[108:109], v[88:89], v[92:95]// 000000005F6C: D3F3005C 0D72B16C
	v_mfma_f32_16x16x32_fp8_fp8 v[92:95], a[110:111], v[90:91], v[92:95]// 000000005F74: D3F3005C 0D72B56E
	v_mfma_f32_16x16x32_fp8_fp8 v[96:99], a[112:113], v[88:89], v[96:99]// 000000005F7C: D3F30060 0D82B170
	v_mfma_f32_16x16x32_fp8_fp8 v[96:99], a[114:115], v[90:91], v[96:99]// 000000005F84: D3F30060 0D82B572
	v_mfma_f32_16x16x32_fp8_fp8 v[100:103], a[116:117], v[88:89], v[100:103]// 000000005F8C: D3F30064 0D92B174
	v_mfma_f32_16x16x32_fp8_fp8 v[100:103], a[118:119], v[90:91], v[100:103]// 000000005F94: D3F30064 0D92B576
	v_mfma_f32_16x16x32_fp8_fp8 v[104:107], a[120:121], v[88:89], v[104:107]// 000000005F9C: D3F30068 0DA2B178
	v_mfma_f32_16x16x32_fp8_fp8 v[104:107], a[122:123], v[90:91], v[104:107]// 000000005FA4: D3F30068 0DA2B57A
	v_mfma_f32_16x16x32_fp8_fp8 v[108:111], a[124:125], v[88:89], v[108:111]// 000000005FAC: D3F3006C 0DB2B17C
	v_mfma_f32_16x16x32_fp8_fp8 v[108:111], a[126:127], v[90:91], v[108:111]// 000000005FB4: D3F3006C 0DB2B57E
	v_mfma_f32_16x16x32_fp8_fp8 v[112:115], a[128:129], v[88:89], v[112:115]// 000000005FBC: D3F30070 0DC2B180
	v_mfma_f32_16x16x32_fp8_fp8 v[112:115], a[130:131], v[90:91], v[112:115]// 000000005FC4: D3F30070 0DC2B582
	v_mfma_f32_16x16x32_fp8_fp8 v[116:119], a[132:133], v[88:89], v[116:119]// 000000005FCC: D3F30074 0DD2B184
	v_mfma_f32_16x16x32_fp8_fp8 v[116:119], a[134:135], v[90:91], v[116:119]// 000000005FD4: D3F30074 0DD2B586
	v_mfma_f32_16x16x32_fp8_fp8 v[120:123], a[136:137], v[88:89], v[120:123]// 000000005FDC: D3F30078 0DE2B188
	v_mfma_f32_16x16x32_fp8_fp8 v[120:123], a[138:139], v[90:91], v[120:123]// 000000005FE4: D3F30078 0DE2B58A
	s_nop 8                                                    // 000000005FEC: BF800008
	s_branch label_1089                                        // 000000005FF0: BF82012A

0000000000005ff4 <label_0F3D>:
	s_waitcnt vmcnt(0) expcnt(0) lgkmcnt(0)                    // 000000005FF4: BF8C0000
	s_barrier                                                  // 000000005FF8: BF8A0000
	v_mfma_f32_16x16x32_fp8_fp8 v[88:91], a[72:73], a[0:1], 0  // 000000005FFC: D3F30058 1A020148
	v_mfma_f32_16x16x32_fp8_fp8 v[88:91], a[74:75], a[2:3], v[88:91]// 000000006004: D3F30058 1D62054A
	v_mfma_f32_16x16x32_fp8_fp8 v[88:91], a[76:77], a[4:5], v[88:91]// 00000000600C: D3F30058 1D62094C
	v_mfma_f32_16x16x32_fp8_fp8 v[88:91], a[78:79], a[6:7], v[88:91]// 000000006014: D3F30058 1D620D4E
	v_mfma_f32_16x16x32_fp8_fp8 v[88:91], a[80:81], a[8:9], v[88:91]// 00000000601C: D3F30058 1D621150
	v_mfma_f32_16x16x32_fp8_fp8 v[88:91], a[82:83], a[10:11], v[88:91]// 000000006024: D3F30058 1D621552
	v_mfma_f32_16x16x32_fp8_fp8 v[88:91], a[84:85], a[12:13], v[88:91]// 00000000602C: D3F30058 1D621954
	v_mfma_f32_16x16x32_fp8_fp8 v[88:91], a[86:87], a[14:15], v[88:91]// 000000006034: D3F30058 1D621D56
	v_mfma_f32_16x16x32_fp8_fp8 v[88:91], a[88:89], a[16:17], v[88:91]// 00000000603C: D3F30058 1D622158
	v_mfma_f32_16x16x32_fp8_fp8 v[88:91], a[90:91], a[18:19], v[88:91]// 000000006044: D3F30058 1D62255A
	v_mfma_f32_16x16x32_fp8_fp8 v[88:91], a[92:93], a[20:21], v[88:91]// 00000000604C: D3F30058 1D62295C
	v_mfma_f32_16x16x32_fp8_fp8 v[88:91], a[94:95], a[22:23], v[88:91]// 000000006054: D3F30058 1D622D5E
	v_mfma_f32_16x16x32_fp8_fp8 v[88:91], a[96:97], a[24:25], v[88:91]// 00000000605C: D3F30058 1D623160
	v_mfma_f32_16x16x32_fp8_fp8 v[88:91], a[98:99], a[26:27], v[88:91]// 000000006064: D3F30058 1D623562
	v_mfma_f32_16x16x32_fp8_fp8 v[88:91], a[100:101], a[28:29], v[88:91]// 00000000606C: D3F30058 1D623964
	v_mfma_f32_16x16x32_fp8_fp8 v[88:91], a[102:103], a[30:31], v[88:91]// 000000006074: D3F30058 1D623D66
	v_mfma_f32_16x16x32_fp8_fp8 v[88:91], a[104:105], a[32:33], v[88:91]// 00000000607C: D3F30058 1D624168
	v_mfma_f32_16x16x32_fp8_fp8 v[88:91], a[106:107], a[34:35], v[88:91]// 000000006084: D3F30058 1D62456A
	s_nop 8                                                    // 00000000608C: BF800008
	s_and_b32 s56, s48, 0xff                                   // 000000006090: 8638FF30 000000FF
	v_mov_b32_e32 v43, s56                                     // 000000006098: 7E560238
	v_lshrrev_b32_e32 v44, 4, v0                               // 00000000609C: 20580084
	v_mul_i32_i24_e32 v44, 4, v44                              // 0000000060A0: 0C585884
	s_mul_i32 s56, s7, 16                                      // 0000000060A4: 92389007
	v_add_u32_e32 v44, s56, v44                                // 0000000060A8: 68585838
	v_add_u32_e32 v45, 1, v44                                  // 0000000060AC: 685A5881
	v_add_u32_e32 v46, 2, v44                                  // 0000000060B0: 685C5882
	v_add_u32_e32 v47, 3, v44                                  // 0000000060B4: 685E5883
	v_cmp_lt_u32_e64 s[34:35], v44, v43                        // 0000000060B8: D0C90022 0002572C
	v_add_u32_e32 v44, 64, v44                                 // 0000000060C0: 685858C0
	s_nop 0                                                    // 0000000060C4: BF800000
	v_cndmask_b32_e64 v88, v11, v88, s[34:35]                  // 0000000060C8: D1000058 008AB10B
	v_cmp_lt_u32_e64 s[34:35], v45, v43                        // 0000000060D0: D0C90022 0002572D
	v_add_u32_e32 v45, 64, v45                                 // 0000000060D8: 685A5AC0
	s_nop 0                                                    // 0000000060DC: BF800000
	v_cndmask_b32_e64 v89, v11, v89, s[34:35]                  // 0000000060E0: D1000059 008AB30B
	v_cmp_lt_u32_e64 s[34:35], v46, v43                        // 0000000060E8: D0C90022 0002572E
	v_add_u32_e32 v46, 64, v46                                 // 0000000060F0: 685C5CC0
	s_nop 0                                                    // 0000000060F4: BF800000
	v_cndmask_b32_e64 v90, v11, v90, s[34:35]                  // 0000000060F8: D100005A 008AB50B
	v_cmp_lt_u32_e64 s[34:35], v47, v43                        // 000000006100: D0C90022 0002572F
	v_add_u32_e32 v47, 64, v47                                 // 000000006108: 685E5EC0
	s_nop 0                                                    // 00000000610C: BF800000
	v_cndmask_b32_e64 v91, v11, v91, s[34:35]                  // 000000006110: D100005B 008AB70B
	v_mov_b32_e32 v8, v88                                      // 000000006118: 7E100358
	v_max3_f32 v8, v88, v89, v8                                // 00000000611C: D1D30008 0422B358
	v_max3_f32 v8, v90, v91, v8                                // 000000006124: D1D30008 0422B75A
	ds_write_b32 v5, v8 offset:21120                           // 00000000612C: D81A5280 00000805
	s_waitcnt lgkmcnt(0)                                       // 000000006134: BF8CC07F
	s_barrier                                                  // 000000006138: BF8A0000
	ds_read_b32 v56, v4 offset:21120                           // 00000000613C: D86C5280 38000004
	ds_read_b32 v57, v4 offset:21184                           // 000000006144: D86C52C0 39000004
	ds_read_b32 v58, v4 offset:21248                           // 00000000614C: D86C5300 3A000004
	ds_read_b32 v59, v4 offset:21312                           // 000000006154: D86C5340 3B000004
	ds_read_b32 v60, v4 offset:21376                           // 00000000615C: D86C5380 3C000004
	ds_read_b32 v61, v4 offset:21440                           // 000000006164: D86C53C0 3D000004
	ds_read_b32 v62, v4 offset:21504                           // 00000000616C: D86C5400 3E000004
	ds_read_b32 v63, v4 offset:21568                           // 000000006174: D86C5440 3F000004
	ds_read_b32 v64, v4 offset:21632                           // 00000000617C: D86C5480 40000004
	ds_read_b32 v65, v4 offset:21696                           // 000000006184: D86C54C0 41000004
	ds_read_b32 v66, v4 offset:21760                           // 00000000618C: D86C5500 42000004
	ds_read_b32 v67, v4 offset:21824                           // 000000006194: D86C5540 43000004
	ds_read_b32 v68, v4 offset:21888                           // 00000000619C: D86C5580 44000004
	ds_read_b32 v69, v4 offset:21952                           // 0000000061A4: D86C55C0 45000004
	ds_read_b32 v70, v4 offset:22016                           // 0000000061AC: D86C5600 46000004
	ds_read_b32 v71, v4 offset:22080                           // 0000000061B4: D86C5640 47000004
	s_waitcnt lgkmcnt(0)                                       // 0000000061BC: BF8CC07F
	v_max3_f32 v8, v56, v57, v8                                // 0000000061C0: D1D30008 04227338
	v_max3_f32 v8, v58, v59, v8                                // 0000000061C8: D1D30008 0422773A
	v_max3_f32 v8, v60, v61, v8                                // 0000000061D0: D1D30008 04227B3C
	v_max3_f32 v8, v62, v63, v8                                // 0000000061D8: D1D30008 04227F3E
	v_max3_f32 v8, v64, v65, v8                                // 0000000061E0: D1D30008 04228340
	v_max3_f32 v8, v66, v67, v8                                // 0000000061E8: D1D30008 04228742
	v_max3_f32 v8, v68, v69, v8                                // 0000000061F0: D1D30008 04228B44
	v_max3_f32 v8, v70, v71, v8                                // 0000000061F8: D1D30008 04228F46
	v_cmp_eq_u32_e64 s[34:35], v11, v12                        // 000000006200: D0CA0022 0002190B
	v_max_f32_e32 v13, v8, v12                                 // 000000006208: 161A1908
	v_sub_f32_e32 v18, v12, v13                                // 00000000620C: 04241B0C
	v_cndmask_b32_e64 v18, v18, 0, s[34:35]                    // 000000006210: D1000012 00890112
	v_mov_b32_e32 v12, v13                                     // 000000006218: 7E18030D
	v_mul_f32_e32 v9, s5, v13                                  // 00000000621C: 0A121A05
	v_mul_f32_e32 v18, s5, v18                                 // 000000006220: 0A242405
	v_exp_f32_e32 v18, v18                                     // 000000006224: 7E244112
	v_fma_f32 v88, v88, s5, -v9                                // 000000006228: D1CB0058 84240B58
	v_fma_f32 v89, v89, s5, -v9                                // 000000006230: D1CB0059 84240B59
	v_fma_f32 v90, v90, s5, -v9                                // 000000006238: D1CB005A 84240B5A
	v_fma_f32 v91, v91, s5, -v9                                // 000000006240: D1CB005B 84240B5B
	v_exp_f32_e32 v88, v88                                     // 000000006248: 7EB04158
	v_exp_f32_e32 v89, v89                                     // 00000000624C: 7EB24159
	v_exp_f32_e32 v90, v90                                     // 000000006250: 7EB4415A
	v_exp_f32_e32 v91, v91                                     // 000000006254: 7EB6415B
	v_mul_f32_e32 v14, v18, v14                                // 000000006258: 0A1C1D12
	v_mov_b32_e32 v15, v88                                     // 00000000625C: 7E1E0358
	v_add_f32_e32 v15, v89, v15                                // 000000006260: 021E1F59
	v_add_f32_e32 v15, v90, v15                                // 000000006264: 021E1F5A
	v_add_f32_e32 v15, v91, v15                                // 000000006268: 021E1F5B
	v_add_f32_e32 v14, v15, v14                                // 00000000626C: 021C1D0F
	v_cvt_pk_fp8_f32 v88, v88, v89                             // 000000006270: D2A20058 0002B358
	v_cvt_pk_fp8_f32 v88, v90, v91 op_sel:[0,0,1]              // 000000006278: D2A24058 0002B75A
	ds_write_b32 v7, v88                                       // 000000006280: D81A0000 00005807
	v_mov_b32_e32 v32, v18                                     // 000000006288: 7E400312
	v_mov_b32_e32 v33, v18                                     // 00000000628C: 7E420312
	v_pk_mul_f32 v[92:93], v[32:33], v[92:93]                  // 000000006290: D3B1405C 1802B920
	v_pk_mul_f32 v[94:95], v[32:33], v[94:95]                  // 000000006298: D3B1405E 1802BD20
	v_pk_mul_f32 v[96:97], v[32:33], v[96:97]                  // 0000000062A0: D3B14060 1802C120
	v_pk_mul_f32 v[98:99], v[32:33], v[98:99]                  // 0000000062A8: D3B14062 1802C520
	v_pk_mul_f32 v[100:101], v[32:33], v[100:101]              // 0000000062B0: D3B14064 1802C920
	v_pk_mul_f32 v[102:103], v[32:33], v[102:103]              // 0000000062B8: D3B14066 1802CD20
	v_pk_mul_f32 v[104:105], v[32:33], v[104:105]              // 0000000062C0: D3B14068 1802D120
	v_pk_mul_f32 v[106:107], v[32:33], v[106:107]              // 0000000062C8: D3B1406A 1802D520
	v_pk_mul_f32 v[108:109], v[32:33], v[108:109]              // 0000000062D0: D3B1406C 1802D920
	v_pk_mul_f32 v[110:111], v[32:33], v[110:111]              // 0000000062D8: D3B1406E 1802DD20
	v_pk_mul_f32 v[112:113], v[32:33], v[112:113]              // 0000000062E0: D3B14070 1802E120
	v_pk_mul_f32 v[114:115], v[32:33], v[114:115]              // 0000000062E8: D3B14072 1802E520
	v_pk_mul_f32 v[116:117], v[32:33], v[116:117]              // 0000000062F0: D3B14074 1802E920
	v_pk_mul_f32 v[118:119], v[32:33], v[118:119]              // 0000000062F8: D3B14076 1802ED20
	v_pk_mul_f32 v[120:121], v[32:33], v[120:121]              // 000000006300: D3B14078 1802F120
	v_pk_mul_f32 v[122:123], v[32:33], v[122:123]              // 000000006308: D3B1407A 1802F520
	s_waitcnt lgkmcnt(0)                                       // 000000006310: BF8CC07F
	s_barrier                                                  // 000000006314: BF8A0000
	ds_read_b64 v[88:89], v6                                   // 000000006318: D8EC0000 58000006
	ds_read_b64 v[90:91], v6 offset:32                         // 000000006320: D8EC0020 5A000006
	v_mul_u32_u24_dpp v40, v24, v10 row_newbcast:0 row_mask:0xf bank_mask:0xf// 000000006328: 105014FA FF015018
	v_mul_u32_u24_dpp v41, v24, v10 row_newbcast:1 row_mask:0xf bank_mask:0xf// 000000006330: 105214FA FF015118
	v_mul_u32_u24_dpp v42, v24, v10 row_newbcast:2 row_mask:0xf bank_mask:0xf// 000000006338: 105414FA FF015218
	v_mul_u32_u24_dpp v43, v24, v10 row_newbcast:3 row_mask:0xf bank_mask:0xf// 000000006340: 105614FA FF015318
	v_mul_u32_u24_dpp v44, v24, v10 row_newbcast:4 row_mask:0xf bank_mask:0xf// 000000006348: 105814FA FF015418
	v_mul_u32_u24_dpp v45, v24, v10 row_newbcast:5 row_mask:0xf bank_mask:0xf// 000000006350: 105A14FA FF015518
	v_mul_u32_u24_dpp v46, v24, v10 row_newbcast:6 row_mask:0xf bank_mask:0xf// 000000006358: 105C14FA FF015618
	v_mul_u32_u24_dpp v47, v24, v10 row_newbcast:7 row_mask:0xf bank_mask:0xf// 000000006360: 105E14FA FF015718
	v_mul_u32_u24_dpp v48, v24, v10 row_newbcast:8 row_mask:0xf bank_mask:0xf// 000000006368: 106014FA FF015818
	v_mul_u32_u24_dpp v49, v24, v10 row_newbcast:9 row_mask:0xf bank_mask:0xf// 000000006370: 106214FA FF015918
	v_mul_u32_u24_dpp v50, v24, v10 row_newbcast:10 row_mask:0xf bank_mask:0xf// 000000006378: 106414FA FF015A18
	v_mul_u32_u24_dpp v51, v24, v10 row_newbcast:11 row_mask:0xf bank_mask:0xf// 000000006380: 106614FA FF015B18
	v_mul_u32_u24_dpp v52, v24, v10 row_newbcast:12 row_mask:0xf bank_mask:0xf// 000000006388: 106814FA FF015C18
	v_mul_u32_u24_dpp v53, v24, v10 row_newbcast:13 row_mask:0xf bank_mask:0xf// 000000006390: 106A14FA FF015D18
	v_mul_u32_u24_dpp v54, v24, v10 row_newbcast:14 row_mask:0xf bank_mask:0xf// 000000006398: 106C14FA FF015E18
	v_mul_u32_u24_dpp v55, v24, v10 row_newbcast:15 row_mask:0xf bank_mask:0xf// 0000000063A0: 106E14FA FF015F18
	s_mov_b32 s56, m0                                          // 0000000063A8: BEB8007C
	s_set_gpr_idx_on s51, gpr_idx(SRC0)                        // 0000000063AC: BF110133
	v_add_u32_e32 v36, v40, v3                                 // 0000000063B0: 68480728
	v_add_u32_e32 v37, v41, v3                                 // 0000000063B4: 684A0729
	v_add_u32_e32 v38, v42, v3                                 // 0000000063B8: 684C072A
	v_add_u32_e32 v39, v43, v3                                 // 0000000063BC: 684E072B
	s_set_gpr_idx_off                                          // 0000000063C0: BF9C0000
	s_mov_b32 m0, s56                                          // 0000000063C4: BEFC0038
	v_add_u32_e32 v40, v40, v2                                 // 0000000063C8: 68500528
	v_add_u32_e32 v41, v41, v2                                 // 0000000063CC: 68520529
	v_add_u32_e32 v42, v42, v2                                 // 0000000063D0: 6854052A
	v_add_u32_e32 v43, v43, v2                                 // 0000000063D4: 6856052B
	v_add_u32_e32 v44, v44, v2                                 // 0000000063D8: 6858052C
	v_add_u32_e32 v45, v45, v2                                 // 0000000063DC: 685A052D
	v_add_u32_e32 v46, v46, v2                                 // 0000000063E0: 685C052E
	v_add_u32_e32 v47, v47, v2                                 // 0000000063E4: 685E052F
	v_add_u32_e32 v48, v48, v2                                 // 0000000063E8: 68600530
	v_add_u32_e32 v49, v49, v2                                 // 0000000063EC: 68620531
	v_add_u32_e32 v50, v50, v2                                 // 0000000063F0: 68640532
	v_add_u32_e32 v51, v51, v2                                 // 0000000063F4: 68660533
	v_add_u32_e32 v52, v52, v2                                 // 0000000063F8: 68680534
	v_add_u32_e32 v53, v53, v2                                 // 0000000063FC: 686A0535
	v_add_u32_e32 v54, v54, v2                                 // 000000006400: 686C0536
	v_add_u32_e32 v55, v55, v2                                 // 000000006404: 686E0537
	s_waitcnt lgkmcnt(0)                                       // 000000006408: BF8CC07F
	s_waitcnt vmcnt(0)                                         // 00000000640C: BF8C0F70
	s_barrier                                                  // 000000006410: BF8A0000
	v_mfma_f32_16x16x32_fp8_fp8 v[92:95], a[108:109], v[88:89], v[92:95]// 000000006414: D3F3005C 0D72B16C
	v_mfma_f32_16x16x32_fp8_fp8 v[92:95], a[110:111], v[90:91], v[92:95]// 00000000641C: D3F3005C 0D72B56E
	v_mfma_f32_16x16x32_fp8_fp8 v[96:99], a[112:113], v[88:89], v[96:99]// 000000006424: D3F30060 0D82B170
	v_mfma_f32_16x16x32_fp8_fp8 v[96:99], a[114:115], v[90:91], v[96:99]// 00000000642C: D3F30060 0D82B572
	v_mfma_f32_16x16x32_fp8_fp8 v[100:103], a[116:117], v[88:89], v[100:103]// 000000006434: D3F30064 0D92B174
	v_mfma_f32_16x16x32_fp8_fp8 v[100:103], a[118:119], v[90:91], v[100:103]// 00000000643C: D3F30064 0D92B576
	v_mfma_f32_16x16x32_fp8_fp8 v[104:107], a[120:121], v[88:89], v[104:107]// 000000006444: D3F30068 0DA2B178
	v_mfma_f32_16x16x32_fp8_fp8 v[104:107], a[122:123], v[90:91], v[104:107]// 00000000644C: D3F30068 0DA2B57A
	v_mfma_f32_16x16x32_fp8_fp8 v[108:111], a[124:125], v[88:89], v[108:111]// 000000006454: D3F3006C 0DB2B17C
	v_mfma_f32_16x16x32_fp8_fp8 v[108:111], a[126:127], v[90:91], v[108:111]// 00000000645C: D3F3006C 0DB2B57E
	v_mfma_f32_16x16x32_fp8_fp8 v[112:115], a[128:129], v[88:89], v[112:115]// 000000006464: D3F30070 0DC2B180
	v_mfma_f32_16x16x32_fp8_fp8 v[112:115], a[130:131], v[90:91], v[112:115]// 00000000646C: D3F30070 0DC2B582
	v_mfma_f32_16x16x32_fp8_fp8 v[116:119], a[132:133], v[88:89], v[116:119]// 000000006474: D3F30074 0DD2B184
	v_mfma_f32_16x16x32_fp8_fp8 v[116:119], a[134:135], v[90:91], v[116:119]// 00000000647C: D3F30074 0DD2B586
	v_mfma_f32_16x16x32_fp8_fp8 v[120:123], a[136:137], v[88:89], v[120:123]// 000000006484: D3F30078 0DE2B188
	v_mfma_f32_16x16x32_fp8_fp8 v[120:123], a[138:139], v[90:91], v[120:123]// 00000000648C: D3F30078 0DE2B58A
	s_nop 8                                                    // 000000006494: BF800008
	s_branch label_1089                                        // 000000006498: BF820000

000000000000649c <label_1089>:
	ds_write_b32 v5, v14 offset:21120                          // 00000000649C: D81A5280 00000E05
	s_waitcnt lgkmcnt(0)                                       // 0000000064A4: BF8CC07F
	s_barrier                                                  // 0000000064A8: BF8A0000
	ds_read_b32 v56, v4 offset:21120                           // 0000000064AC: D86C5280 38000004
	ds_read_b32 v57, v4 offset:21184                           // 0000000064B4: D86C52C0 39000004
	ds_read_b32 v58, v4 offset:21248                           // 0000000064BC: D86C5300 3A000004
	ds_read_b32 v59, v4 offset:21312                           // 0000000064C4: D86C5340 3B000004
	ds_read_b32 v60, v4 offset:21376                           // 0000000064CC: D86C5380 3C000004
	ds_read_b32 v61, v4 offset:21440                           // 0000000064D4: D86C53C0 3D000004
	ds_read_b32 v62, v4 offset:21504                           // 0000000064DC: D86C5400 3E000004
	ds_read_b32 v63, v4 offset:21568                           // 0000000064E4: D86C5440 3F000004
	ds_read_b32 v64, v4 offset:21632                           // 0000000064EC: D86C5480 40000004
	ds_read_b32 v65, v4 offset:21696                           // 0000000064F4: D86C54C0 41000004
	ds_read_b32 v66, v4 offset:21760                           // 0000000064FC: D86C5500 42000004
	ds_read_b32 v67, v4 offset:21824                           // 000000006504: D86C5540 43000004
	ds_read_b32 v68, v4 offset:21888                           // 00000000650C: D86C5580 44000004
	ds_read_b32 v69, v4 offset:21952                           // 000000006514: D86C55C0 45000004
	ds_read_b32 v70, v4 offset:22016                           // 00000000651C: D86C5600 46000004
	ds_read_b32 v71, v4 offset:22080                           // 000000006524: D86C5640 47000004
	s_waitcnt lgkmcnt(0)                                       // 00000000652C: BF8CC07F
	v_mov_b32_e32 v14, 0                                       // 000000006530: 7E1C0280
	v_add_f32_e32 v14, v56, v14                                // 000000006534: 021C1D38
	v_add_f32_e32 v14, v57, v14                                // 000000006538: 021C1D39
	v_add_f32_e32 v14, v58, v14                                // 00000000653C: 021C1D3A
	v_add_f32_e32 v14, v59, v14                                // 000000006540: 021C1D3B
	v_add_f32_e32 v14, v60, v14                                // 000000006544: 021C1D3C
	v_add_f32_e32 v14, v61, v14                                // 000000006548: 021C1D3D
	v_add_f32_e32 v14, v62, v14                                // 00000000654C: 021C1D3E
	v_add_f32_e32 v14, v63, v14                                // 000000006550: 021C1D3F
	v_add_f32_e32 v14, v64, v14                                // 000000006554: 021C1D40
	v_add_f32_e32 v14, v65, v14                                // 000000006558: 021C1D41
	v_add_f32_e32 v14, v66, v14                                // 00000000655C: 021C1D42
	v_add_f32_e32 v14, v67, v14                                // 000000006560: 021C1D43
	v_add_f32_e32 v14, v68, v14                                // 000000006564: 021C1D44
	v_add_f32_e32 v14, v69, v14                                // 000000006568: 021C1D45
	v_add_f32_e32 v14, v70, v14                                // 00000000656C: 021C1D46
	v_add_f32_e32 v14, v71, v14                                // 000000006570: 021C1D47
	v_mul_f32_e64 v32, v12, s64                                // 000000006574: D1050020 0000810C
	v_log_f32_e32 v33, v14                                     // 00000000657C: 7E42430E
	s_nop 1                                                    // 000000006580: BF800001
	v_rcp_f32_e32 v14, v14                                     // 000000006584: 7E1C450E
	s_nop 1                                                    // 000000006588: BF800001
	v_fma_f32 v42, v33, s63, v32                               // 00000000658C: D1CB002A 04807F21
	v_mul_f32_e32 v92, v14, v92                                // 000000006594: 0AB8B90E
	v_mul_f32_e32 v93, v14, v93                                // 000000006598: 0ABABB0E
	v_mul_f32_e32 v94, v14, v94                                // 00000000659C: 0ABCBD0E
	v_mul_f32_e32 v95, v14, v95                                // 0000000065A0: 0ABEBF0E
	v_mul_f32_e32 v96, v14, v96                                // 0000000065A4: 0AC0C10E
	v_mul_f32_e32 v97, v14, v97                                // 0000000065A8: 0AC2C30E
	v_mul_f32_e32 v98, v14, v98                                // 0000000065AC: 0AC4C50E
	v_mul_f32_e32 v99, v14, v99                                // 0000000065B0: 0AC6C70E
	v_mul_f32_e32 v100, v14, v100                              // 0000000065B4: 0AC8C90E
	v_mul_f32_e32 v101, v14, v101                              // 0000000065B8: 0ACACB0E
	v_mul_f32_e32 v102, v14, v102                              // 0000000065BC: 0ACCCD0E
	v_mul_f32_e32 v103, v14, v103                              // 0000000065C0: 0ACECF0E
	v_mul_f32_e32 v104, v14, v104                              // 0000000065C4: 0AD0D10E
	v_mul_f32_e32 v105, v14, v105                              // 0000000065C8: 0AD2D30E
	v_mul_f32_e32 v106, v14, v106                              // 0000000065CC: 0AD4D50E
	v_mul_f32_e32 v107, v14, v107                              // 0000000065D0: 0AD6D70E
	v_mul_f32_e32 v108, v14, v108                              // 0000000065D4: 0AD8D90E
	v_mul_f32_e32 v109, v14, v109                              // 0000000065D8: 0ADADB0E
	v_mul_f32_e32 v110, v14, v110                              // 0000000065DC: 0ADCDD0E
	v_mul_f32_e32 v111, v14, v111                              // 0000000065E0: 0ADEDF0E
	v_mul_f32_e32 v112, v14, v112                              // 0000000065E4: 0AE0E10E
	v_mul_f32_e32 v113, v14, v113                              // 0000000065E8: 0AE2E30E
	v_mul_f32_e32 v114, v14, v114                              // 0000000065EC: 0AE4E50E
	v_mul_f32_e32 v115, v14, v115                              // 0000000065F0: 0AE6E70E
	v_mul_f32_e32 v116, v14, v116                              // 0000000065F4: 0AE8E90E
	v_mul_f32_e32 v117, v14, v117                              // 0000000065F8: 0AEAEB0E
	v_mul_f32_e32 v118, v14, v118                              // 0000000065FC: 0AECED0E
	v_mul_f32_e32 v119, v14, v119                              // 000000006600: 0AEEEF0E
	v_mul_f32_e32 v120, v14, v120                              // 000000006604: 0AF0F10E
	v_mul_f32_e32 v121, v14, v121                              // 000000006608: 0AF2F30E
	v_mul_f32_e32 v122, v14, v122                              // 00000000660C: 0AF4F50E
	v_mul_f32_e32 v123, v14, v123                              // 000000006610: 0AF6F70E
	s_cmp_lt_i32 s87, 0                                        // 000000006614: BF048057
	s_cbranch_scc0 label_1284                                  // 000000006618: BF84019B
	s_waitcnt lgkmcnt(0)                                       // 00000000661C: BF8CC07F
	s_barrier                                                  // 000000006620: BF8A0000
	v_lshlrev_b32_e32 v41, 1, v0                               // 000000006624: 24520081
	s_mul_i32 s56, s7, 0x410                                   // 000000006628: 9238FF07 00000410
	v_add_u32_e32 v41, s56, v41                                // 000000006630: 68525238
	v_lshlrev_b32_e32 v41, 2, v41                              // 000000006634: 24525282
	v_mov_b32_e32 v56, v92                                     // 000000006638: 7E70035C
	v_mov_b32_e32 v57, v96                                     // 00000000663C: 7E720360
	v_mov_b32_e32 v58, v100                                    // 000000006640: 7E740364
	v_mov_b32_e32 v59, v104                                    // 000000006644: 7E760368
	v_mul_f32_e32 v56, s43, v56                                // 000000006648: 0A70702B
	v_mul_f32_e32 v57, s43, v57                                // 00000000664C: 0A72722B
	v_mul_f32_e32 v58, s43, v58                                // 000000006650: 0A74742B
	v_mul_f32_e32 v59, s43, v59                                // 000000006654: 0A76762B
	v_cmp_u_f32_e64 s[34:35], v56, v56                         // 000000006658: D0480022 00027138
	v_add3_u32 v28, v56, v31, 1                                // 000000006660: D1FF001C 02063F38
	v_cndmask_b32_e64 v32, v28, v30, s[34:35]                  // 000000006668: D1000020 008A3D1C
	v_cmp_u_f32_e64 s[34:35], v57, v57                         // 000000006670: D0480022 00027339
	v_add3_u32 v28, v57, v31, 1                                // 000000006678: D1FF001C 02063F39
	v_cndmask_b32_e64 v33, v28, v30, s[34:35]                  // 000000006680: D1000021 008A3D1C
	v_perm_b32 v56, v33, v32, s52                              // 000000006688: D1ED0038 00D24121
	v_cmp_u_f32_e64 s[34:35], v58, v58                         // 000000006690: D0480022 0002753A
	v_add3_u32 v28, v58, v31, 1                                // 000000006698: D1FF001C 02063F3A
	v_cndmask_b32_e64 v32, v28, v30, s[34:35]                  // 0000000066A0: D1000020 008A3D1C
	v_cmp_u_f32_e64 s[34:35], v59, v59                         // 0000000066A8: D0480022 0002773B
	v_add3_u32 v28, v59, v31, 1                                // 0000000066B0: D1FF001C 02063F3B
	v_cndmask_b32_e64 v33, v28, v30, s[34:35]                  // 0000000066B8: D1000021 008A3D1C
	v_perm_b32 v57, v33, v32, s52                              // 0000000066C0: D1ED0039 00D24121
	ds_write_b64 v41, v[56:57]                                 // 0000000066C8: D89A0000 00003829
	v_mov_b32_e32 v56, v93                                     // 0000000066D0: 7E70035D
	v_mov_b32_e32 v57, v97                                     // 0000000066D4: 7E720361
	v_mov_b32_e32 v58, v101                                    // 0000000066D8: 7E740365
	v_mov_b32_e32 v59, v105                                    // 0000000066DC: 7E760369
	v_mul_f32_e32 v56, s43, v56                                // 0000000066E0: 0A70702B
	v_mul_f32_e32 v57, s43, v57                                // 0000000066E4: 0A72722B
	v_mul_f32_e32 v58, s43, v58                                // 0000000066E8: 0A74742B
	v_mul_f32_e32 v59, s43, v59                                // 0000000066EC: 0A76762B
	v_cmp_u_f32_e64 s[34:35], v56, v56                         // 0000000066F0: D0480022 00027138
	v_add3_u32 v28, v56, v31, 1                                // 0000000066F8: D1FF001C 02063F38
	v_cndmask_b32_e64 v32, v28, v30, s[34:35]                  // 000000006700: D1000020 008A3D1C
	v_cmp_u_f32_e64 s[34:35], v57, v57                         // 000000006708: D0480022 00027339
	v_add3_u32 v28, v57, v31, 1                                // 000000006710: D1FF001C 02063F39
	v_cndmask_b32_e64 v33, v28, v30, s[34:35]                  // 000000006718: D1000021 008A3D1C
	v_perm_b32 v56, v33, v32, s52                              // 000000006720: D1ED0038 00D24121
	v_cmp_u_f32_e64 s[34:35], v58, v58                         // 000000006728: D0480022 0002753A
	v_add3_u32 v28, v58, v31, 1                                // 000000006730: D1FF001C 02063F3A
	v_cndmask_b32_e64 v32, v28, v30, s[34:35]                  // 000000006738: D1000020 008A3D1C
	v_cmp_u_f32_e64 s[34:35], v59, v59                         // 000000006740: D0480022 0002773B
	v_add3_u32 v28, v59, v31, 1                                // 000000006748: D1FF001C 02063F3B
	v_cndmask_b32_e64 v33, v28, v30, s[34:35]                  // 000000006750: D1000021 008A3D1C
	v_perm_b32 v57, v33, v32, s52                              // 000000006758: D1ED0039 00D24121
	ds_write_b64 v41, v[56:57] offset:520                      // 000000006760: D89A0208 00003829
	v_mov_b32_e32 v56, v94                                     // 000000006768: 7E70035E
	v_mov_b32_e32 v57, v98                                     // 00000000676C: 7E720362
	v_mov_b32_e32 v58, v102                                    // 000000006770: 7E740366
	v_mov_b32_e32 v59, v106                                    // 000000006774: 7E76036A
	v_mul_f32_e32 v56, s43, v56                                // 000000006778: 0A70702B
	v_mul_f32_e32 v57, s43, v57                                // 00000000677C: 0A72722B
	v_mul_f32_e32 v58, s43, v58                                // 000000006780: 0A74742B
	v_mul_f32_e32 v59, s43, v59                                // 000000006784: 0A76762B
	v_cmp_u_f32_e64 s[34:35], v56, v56                         // 000000006788: D0480022 00027138
	v_add3_u32 v28, v56, v31, 1                                // 000000006790: D1FF001C 02063F38
	v_cndmask_b32_e64 v32, v28, v30, s[34:35]                  // 000000006798: D1000020 008A3D1C
	v_cmp_u_f32_e64 s[34:35], v57, v57                         // 0000000067A0: D0480022 00027339
	v_add3_u32 v28, v57, v31, 1                                // 0000000067A8: D1FF001C 02063F39
	v_cndmask_b32_e64 v33, v28, v30, s[34:35]                  // 0000000067B0: D1000021 008A3D1C
	v_perm_b32 v56, v33, v32, s52                              // 0000000067B8: D1ED0038 00D24121
	v_cmp_u_f32_e64 s[34:35], v58, v58                         // 0000000067C0: D0480022 0002753A
	v_add3_u32 v28, v58, v31, 1                                // 0000000067C8: D1FF001C 02063F3A
	v_cndmask_b32_e64 v32, v28, v30, s[34:35]                  // 0000000067D0: D1000020 008A3D1C
	v_cmp_u_f32_e64 s[34:35], v59, v59                         // 0000000067D8: D0480022 0002773B
	v_add3_u32 v28, v59, v31, 1                                // 0000000067E0: D1FF001C 02063F3B
	v_cndmask_b32_e64 v33, v28, v30, s[34:35]                  // 0000000067E8: D1000021 008A3D1C
	v_perm_b32 v57, v33, v32, s52                              // 0000000067F0: D1ED0039 00D24121
	ds_write_b64 v41, v[56:57] offset:1040                     // 0000000067F8: D89A0410 00003829
	v_mov_b32_e32 v56, v95                                     // 000000006800: 7E70035F
	v_mov_b32_e32 v57, v99                                     // 000000006804: 7E720363
	v_mov_b32_e32 v58, v103                                    // 000000006808: 7E740367
	v_mov_b32_e32 v59, v107                                    // 00000000680C: 7E76036B
	v_mul_f32_e32 v56, s43, v56                                // 000000006810: 0A70702B
	v_mul_f32_e32 v57, s43, v57                                // 000000006814: 0A72722B
	v_mul_f32_e32 v58, s43, v58                                // 000000006818: 0A74742B
	v_mul_f32_e32 v59, s43, v59                                // 00000000681C: 0A76762B
	v_cmp_u_f32_e64 s[34:35], v56, v56                         // 000000006820: D0480022 00027138
	v_add3_u32 v28, v56, v31, 1                                // 000000006828: D1FF001C 02063F38
	v_cndmask_b32_e64 v32, v28, v30, s[34:35]                  // 000000006830: D1000020 008A3D1C
	v_cmp_u_f32_e64 s[34:35], v57, v57                         // 000000006838: D0480022 00027339
	v_add3_u32 v28, v57, v31, 1                                // 000000006840: D1FF001C 02063F39
	v_cndmask_b32_e64 v33, v28, v30, s[34:35]                  // 000000006848: D1000021 008A3D1C
	v_perm_b32 v56, v33, v32, s52                              // 000000006850: D1ED0038 00D24121
	v_cmp_u_f32_e64 s[34:35], v58, v58                         // 000000006858: D0480022 0002753A
	v_add3_u32 v28, v58, v31, 1                                // 000000006860: D1FF001C 02063F3A
	v_cndmask_b32_e64 v32, v28, v30, s[34:35]                  // 000000006868: D1000020 008A3D1C
	v_cmp_u_f32_e64 s[34:35], v59, v59                         // 000000006870: D0480022 0002773B
	v_add3_u32 v28, v59, v31, 1                                // 000000006878: D1FF001C 02063F3B
	v_cndmask_b32_e64 v33, v28, v30, s[34:35]                  // 000000006880: D1000021 008A3D1C
	v_perm_b32 v57, v33, v32, s52                              // 000000006888: D1ED0039 00D24121
	ds_write_b64 v41, v[56:57] offset:1560                     // 000000006890: D89A0618 00003829
	v_mov_b32_e32 v56, v108                                    // 000000006898: 7E70036C
	v_mov_b32_e32 v57, v112                                    // 00000000689C: 7E720370
	v_mov_b32_e32 v58, v116                                    // 0000000068A0: 7E740374
	v_mov_b32_e32 v59, v120                                    // 0000000068A4: 7E760378
	v_mul_f32_e32 v56, s43, v56                                // 0000000068A8: 0A70702B
	v_mul_f32_e32 v57, s43, v57                                // 0000000068AC: 0A72722B
	v_mul_f32_e32 v58, s43, v58                                // 0000000068B0: 0A74742B
	v_mul_f32_e32 v59, s43, v59                                // 0000000068B4: 0A76762B
	v_cmp_u_f32_e64 s[34:35], v56, v56                         // 0000000068B8: D0480022 00027138
	v_add3_u32 v28, v56, v31, 1                                // 0000000068C0: D1FF001C 02063F38
	v_cndmask_b32_e64 v32, v28, v30, s[34:35]                  // 0000000068C8: D1000020 008A3D1C
	v_cmp_u_f32_e64 s[34:35], v57, v57                         // 0000000068D0: D0480022 00027339
	v_add3_u32 v28, v57, v31, 1                                // 0000000068D8: D1FF001C 02063F39
	v_cndmask_b32_e64 v33, v28, v30, s[34:35]                  // 0000000068E0: D1000021 008A3D1C
	v_perm_b32 v56, v33, v32, s52                              // 0000000068E8: D1ED0038 00D24121
	v_cmp_u_f32_e64 s[34:35], v58, v58                         // 0000000068F0: D0480022 0002753A
	v_add3_u32 v28, v58, v31, 1                                // 0000000068F8: D1FF001C 02063F3A
	v_cndmask_b32_e64 v32, v28, v30, s[34:35]                  // 000000006900: D1000020 008A3D1C
	v_cmp_u_f32_e64 s[34:35], v59, v59                         // 000000006908: D0480022 0002773B
	v_add3_u32 v28, v59, v31, 1                                // 000000006910: D1FF001C 02063F3B
	v_cndmask_b32_e64 v33, v28, v30, s[34:35]                  // 000000006918: D1000021 008A3D1C
	v_perm_b32 v57, v33, v32, s52                              // 000000006920: D1ED0039 00D24121
	ds_write_b64 v41, v[56:57] offset:2080                     // 000000006928: D89A0820 00003829
	v_mov_b32_e32 v56, v109                                    // 000000006930: 7E70036D
	v_mov_b32_e32 v57, v113                                    // 000000006934: 7E720371
	v_mov_b32_e32 v58, v117                                    // 000000006938: 7E740375
	v_mov_b32_e32 v59, v121                                    // 00000000693C: 7E760379
	v_mul_f32_e32 v56, s43, v56                                // 000000006940: 0A70702B
	v_mul_f32_e32 v57, s43, v57                                // 000000006944: 0A72722B
	v_mul_f32_e32 v58, s43, v58                                // 000000006948: 0A74742B
	v_mul_f32_e32 v59, s43, v59                                // 00000000694C: 0A76762B
	v_cmp_u_f32_e64 s[34:35], v56, v56                         // 000000006950: D0480022 00027138
	v_add3_u32 v28, v56, v31, 1                                // 000000006958: D1FF001C 02063F38
	v_cndmask_b32_e64 v32, v28, v30, s[34:35]                  // 000000006960: D1000020 008A3D1C
	v_cmp_u_f32_e64 s[34:35], v57, v57                         // 000000006968: D0480022 00027339
	v_add3_u32 v28, v57, v31, 1                                // 000000006970: D1FF001C 02063F39
	v_cndmask_b32_e64 v33, v28, v30, s[34:35]                  // 000000006978: D1000021 008A3D1C
	v_perm_b32 v56, v33, v32, s52                              // 000000006980: D1ED0038 00D24121
	v_cmp_u_f32_e64 s[34:35], v58, v58                         // 000000006988: D0480022 0002753A
	v_add3_u32 v28, v58, v31, 1                                // 000000006990: D1FF001C 02063F3A
	v_cndmask_b32_e64 v32, v28, v30, s[34:35]                  // 000000006998: D1000020 008A3D1C
	v_cmp_u_f32_e64 s[34:35], v59, v59                         // 0000000069A0: D0480022 0002773B
	v_add3_u32 v28, v59, v31, 1                                // 0000000069A8: D1FF001C 02063F3B
	v_cndmask_b32_e64 v33, v28, v30, s[34:35]                  // 0000000069B0: D1000021 008A3D1C
	v_perm_b32 v57, v33, v32, s52                              // 0000000069B8: D1ED0039 00D24121
	ds_write_b64 v41, v[56:57] offset:2600                     // 0000000069C0: D89A0A28 00003829
	v_mov_b32_e32 v56, v110                                    // 0000000069C8: 7E70036E
	v_mov_b32_e32 v57, v114                                    // 0000000069CC: 7E720372
	v_mov_b32_e32 v58, v118                                    // 0000000069D0: 7E740376
	v_mov_b32_e32 v59, v122                                    // 0000000069D4: 7E76037A
	v_mul_f32_e32 v56, s43, v56                                // 0000000069D8: 0A70702B
	v_mul_f32_e32 v57, s43, v57                                // 0000000069DC: 0A72722B
	v_mul_f32_e32 v58, s43, v58                                // 0000000069E0: 0A74742B
	v_mul_f32_e32 v59, s43, v59                                // 0000000069E4: 0A76762B
	v_cmp_u_f32_e64 s[34:35], v56, v56                         // 0000000069E8: D0480022 00027138
	v_add3_u32 v28, v56, v31, 1                                // 0000000069F0: D1FF001C 02063F38
	v_cndmask_b32_e64 v32, v28, v30, s[34:35]                  // 0000000069F8: D1000020 008A3D1C
	v_cmp_u_f32_e64 s[34:35], v57, v57                         // 000000006A00: D0480022 00027339
	v_add3_u32 v28, v57, v31, 1                                // 000000006A08: D1FF001C 02063F39
	v_cndmask_b32_e64 v33, v28, v30, s[34:35]                  // 000000006A10: D1000021 008A3D1C
	v_perm_b32 v56, v33, v32, s52                              // 000000006A18: D1ED0038 00D24121
	v_cmp_u_f32_e64 s[34:35], v58, v58                         // 000000006A20: D0480022 0002753A
	v_add3_u32 v28, v58, v31, 1                                // 000000006A28: D1FF001C 02063F3A
	v_cndmask_b32_e64 v32, v28, v30, s[34:35]                  // 000000006A30: D1000020 008A3D1C
	v_cmp_u_f32_e64 s[34:35], v59, v59                         // 000000006A38: D0480022 0002773B
	v_add3_u32 v28, v59, v31, 1                                // 000000006A40: D1FF001C 02063F3B
	v_cndmask_b32_e64 v33, v28, v30, s[34:35]                  // 000000006A48: D1000021 008A3D1C
	v_perm_b32 v57, v33, v32, s52                              // 000000006A50: D1ED0039 00D24121
	ds_write_b64 v41, v[56:57] offset:3120                     // 000000006A58: D89A0C30 00003829
	v_mov_b32_e32 v56, v111                                    // 000000006A60: 7E70036F
	v_mov_b32_e32 v57, v115                                    // 000000006A64: 7E720373
	v_mov_b32_e32 v58, v119                                    // 000000006A68: 7E740377
	v_mov_b32_e32 v59, v123                                    // 000000006A6C: 7E76037B
	v_mul_f32_e32 v56, s43, v56                                // 000000006A70: 0A70702B
	v_mul_f32_e32 v57, s43, v57                                // 000000006A74: 0A72722B
	v_mul_f32_e32 v58, s43, v58                                // 000000006A78: 0A74742B
	v_mul_f32_e32 v59, s43, v59                                // 000000006A7C: 0A76762B
	v_cmp_u_f32_e64 s[34:35], v56, v56                         // 000000006A80: D0480022 00027138
	v_add3_u32 v28, v56, v31, 1                                // 000000006A88: D1FF001C 02063F38
	v_cndmask_b32_e64 v32, v28, v30, s[34:35]                  // 000000006A90: D1000020 008A3D1C
	v_cmp_u_f32_e64 s[34:35], v57, v57                         // 000000006A98: D0480022 00027339
	v_add3_u32 v28, v57, v31, 1                                // 000000006AA0: D1FF001C 02063F39
	v_cndmask_b32_e64 v33, v28, v30, s[34:35]                  // 000000006AA8: D1000021 008A3D1C
	v_perm_b32 v56, v33, v32, s52                              // 000000006AB0: D1ED0038 00D24121
	v_cmp_u_f32_e64 s[34:35], v58, v58                         // 000000006AB8: D0480022 0002753A
	v_add3_u32 v28, v58, v31, 1                                // 000000006AC0: D1FF001C 02063F3A
	v_cndmask_b32_e64 v32, v28, v30, s[34:35]                  // 000000006AC8: D1000020 008A3D1C
	v_cmp_u_f32_e64 s[34:35], v59, v59                         // 000000006AD0: D0480022 0002773B
	v_add3_u32 v28, v59, v31, 1                                // 000000006AD8: D1FF001C 02063F3B
	v_cndmask_b32_e64 v33, v28, v30, s[34:35]                  // 000000006AE0: D1000021 008A3D1C
	v_perm_b32 v57, v33, v32, s52                              // 000000006AE8: D1ED0039 00D24121
	ds_write_b64 v41, v[56:57] offset:3640                     // 000000006AF0: D89A0E38 00003829
	v_mov_b32_e32 v32, 0                                       // 000000006AF8: 7E400280
	v_mov_b32_e32 v33, 4                                       // 000000006AFC: 7E420284
	s_mov_b32 s56, 0xffff0000                                  // 000000006B00: BEB800FF FFFF0000
	s_mov_b32 s57, 0xffff0000                                  // 000000006B08: BEB900FF FFFF0000
	v_cndmask_b32_e64 v34, v32, v33, s[56:57]                  // 000000006B10: D1000022 00E24320
	v_and_b32_e32 v32, 3, v0                                   // 000000006B18: 26400083
	v_add_u32_e32 v32, v32, v34                                // 000000006B1C: 68404520
	s_mov_b32 s56, 0x82                                        // 000000006B20: BEB800FF 00000082
	v_mul_i32_i24_e32 v32, s56, v32                            // 000000006B28: 0C404038
	v_and_b32_e32 v33, 15, v0                                  // 000000006B2C: 2642008F
	v_lshrrev_b32_e32 v33, 2, v33                              // 000000006B30: 20424282
	s_mov_b32 s56, 32                                          // 000000006B34: BEB800A0
	v_mul_i32_i24_e32 v33, s56, v33                            // 000000006B38: 0C424238
	v_lshrrev_b32_e32 v34, 5, v0                               // 000000006B3C: 20440085
	v_lshlrev_b32_e32 v34, 1, v34                              // 000000006B40: 24444481
	v_add_u32_e32 v41, v32, v33                                // 000000006B44: 68524320
	v_add_u32_e32 v41, v41, v34                                // 000000006B48: 68524529
	s_mul_i32 s56, s7, 0x410                                   // 000000006B4C: 9238FF07 00000410
	v_add_u32_e32 v41, s56, v41                                // 000000006B54: 68525238
	v_lshlrev_b32_e32 v41, 2, v41                              // 000000006B58: 24525282
	s_waitcnt lgkmcnt(0)                                       // 000000006B5C: BF8CC07F
	ds_read_b64 v[92:93], v41                                  // 000000006B60: D8EC0000 5C000029
	ds_read_b64 v[94:95], v41 offset:16                        // 000000006B68: D8EC0010 5E000029
	ds_read_b64 v[96:97], v41 offset:32                        // 000000006B70: D8EC0020 60000029
	ds_read_b64 v[98:99], v41 offset:48                        // 000000006B78: D8EC0030 62000029
	ds_read_b64 v[100:101], v41 offset:64                      // 000000006B80: D8EC0040 64000029
	ds_read_b64 v[102:103], v41 offset:80                      // 000000006B88: D8EC0050 66000029
	ds_read_b64 v[104:105], v41 offset:96                      // 000000006B90: D8EC0060 68000029
	ds_read_b64 v[106:107], v41 offset:112                     // 000000006B98: D8EC0070 6A000029
	s_mul_i32 s75, 0x400, s65                                  // 000000006BA0: 924B41FF 00000400
	s_mul_i32 s56, s78, s75                                    // 000000006BA8: 92384B4E
	s_add_u32 s88, s56, s88                                    // 000000006BAC: 80585838
	s_addc_u32 s89, 0, s89                                     // 000000006BB0: 82595980
	s_mov_b32 s90, s75                                         // 000000006BB4: BEDA004B
	s_mul_i32 s56, s7, 0x100                                   // 000000006BB8: 9238FF07 00000100
	v_lshrrev_b32_e32 v32, 5, v0                               // 000000006BC0: 20400085
	s_mov_b32 s57, 0x400                                       // 000000006BC4: BEB900FF 00000400
	v_mul_i32_i24_e32 v32, s57, v32                            // 000000006BCC: 0C404039
	v_and_b32_e32 v17, 31, v0                                  // 000000006BD0: 2622009F
	v_lshlrev_b32_e32 v17, 3, v17                              // 000000006BD4: 24222283
	v_add_u32_e32 v17, v17, v32                                // 000000006BD8: 68224111
	v_add_u32_e64 v17, v17, s56                                // 000000006BDC: D1340011 00007111
	s_waitcnt lgkmcnt(7)                                       // 000000006BE4: BF8CC77F
	buffer_store_dwordx2 v[92:93], v17, s[88:91], 0 offen      // 000000006BE8: E0741000 80165C11
	v_add_u32_e32 v17, 0x800, v17                              // 000000006BF0: 682222FF 00000800
	s_waitcnt lgkmcnt(6)                                       // 000000006BF8: BF8CC67F
	buffer_store_dwordx2 v[94:95], v17, s[88:91], 0 offen      // 000000006BFC: E0741000 80165E11
	v_add_u32_e32 v17, 0x800, v17                              // 000000006C04: 682222FF 00000800
	s_waitcnt lgkmcnt(5)                                       // 000000006C0C: BF8CC57F
	buffer_store_dwordx2 v[96:97], v17, s[88:91], 0 offen      // 000000006C10: E0741000 80166011
	v_add_u32_e32 v17, 0x800, v17                              // 000000006C18: 682222FF 00000800
	s_waitcnt lgkmcnt(4)                                       // 000000006C20: BF8CC47F
	buffer_store_dwordx2 v[98:99], v17, s[88:91], 0 offen      // 000000006C24: E0741000 80166211
	v_add_u32_e32 v17, 0x800, v17                              // 000000006C2C: 682222FF 00000800
	s_waitcnt lgkmcnt(3)                                       // 000000006C34: BF8CC37F
	buffer_store_dwordx2 v[100:101], v17, s[88:91], 0 offen    // 000000006C38: E0741000 80166411
	v_add_u32_e32 v17, 0x800, v17                              // 000000006C40: 682222FF 00000800
	s_waitcnt lgkmcnt(2)                                       // 000000006C48: BF8CC27F
	buffer_store_dwordx2 v[102:103], v17, s[88:91], 0 offen    // 000000006C4C: E0741000 80166611
	v_add_u32_e32 v17, 0x800, v17                              // 000000006C54: 682222FF 00000800
	s_waitcnt lgkmcnt(1)                                       // 000000006C5C: BF8CC17F
	buffer_store_dwordx2 v[104:105], v17, s[88:91], 0 offen    // 000000006C60: E0741000 80166811
	v_add_u32_e32 v17, 0x800, v17                              // 000000006C68: 682222FF 00000800
	s_waitcnt lgkmcnt(0)                                       // 000000006C70: BF8CC07F
	buffer_store_dwordx2 v[106:107], v17, s[88:91], 0 offen    // 000000006C74: E0741000 80166A11
	v_add_u32_e32 v17, 0x800, v17                              // 000000006C7C: 682222FF 00000800
	s_branch label_1340                                        // 000000006C84: BF8200BC

0000000000006c88 <label_1284>:
	s_waitcnt lgkmcnt(0)                                       // 000000006C88: BF8CC07F
	s_barrier                                                  // 000000006C8C: BF8A0000
	v_lshlrev_b32_e32 v41, 2, v0                               // 000000006C90: 24520082
	s_mul_i32 s56, s7, 0x820                                   // 000000006C94: 9238FF07 00000820
	v_add_u32_e32 v41, s56, v41                                // 000000006C9C: 68525238
	v_lshlrev_b32_e32 v41, 2, v41                              // 000000006CA0: 24525282
	v_mov_b32_e32 v32, v92                                     // 000000006CA4: 7E40035C
	v_mov_b32_e32 v33, v96                                     // 000000006CA8: 7E420360
	v_mov_b32_e32 v34, v100                                    // 000000006CAC: 7E440364
	v_mov_b32_e32 v35, v104                                    // 000000006CB0: 7E460368
	v_mul_f32_e32 v32, s43, v32                                // 000000006CB4: 0A40402B
	v_mul_f32_e32 v33, s43, v33                                // 000000006CB8: 0A42422B
	v_mul_f32_e32 v34, s43, v34                                // 000000006CBC: 0A44442B
	v_mul_f32_e32 v35, s43, v35                                // 000000006CC0: 0A46462B
	ds_write_b128 v41, v[32:35]                                // 000000006CC4: D9BE0000 00002029
	v_mov_b32_e32 v32, v93                                     // 000000006CCC: 7E40035D
	v_mov_b32_e32 v33, v97                                     // 000000006CD0: 7E420361
	v_mov_b32_e32 v34, v101                                    // 000000006CD4: 7E440365
	v_mov_b32_e32 v35, v105                                    // 000000006CD8: 7E460369
	v_mul_f32_e32 v32, s43, v32                                // 000000006CDC: 0A40402B
	v_mul_f32_e32 v33, s43, v33                                // 000000006CE0: 0A42422B
	v_mul_f32_e32 v34, s43, v34                                // 000000006CE4: 0A44442B
	v_mul_f32_e32 v35, s43, v35                                // 000000006CE8: 0A46462B
	ds_write_b128 v41, v[32:35] offset:1040                    // 000000006CEC: D9BE0410 00002029
	v_mov_b32_e32 v32, v94                                     // 000000006CF4: 7E40035E
	v_mov_b32_e32 v33, v98                                     // 000000006CF8: 7E420362
	v_mov_b32_e32 v34, v102                                    // 000000006CFC: 7E440366
	v_mov_b32_e32 v35, v106                                    // 000000006D00: 7E46036A
	v_mul_f32_e32 v32, s43, v32                                // 000000006D04: 0A40402B
	v_mul_f32_e32 v33, s43, v33                                // 000000006D08: 0A42422B
	v_mul_f32_e32 v34, s43, v34                                // 000000006D0C: 0A44442B
	v_mul_f32_e32 v35, s43, v35                                // 000000006D10: 0A46462B
	ds_write_b128 v41, v[32:35] offset:2080                    // 000000006D14: D9BE0820 00002029
	v_mov_b32_e32 v32, v95                                     // 000000006D1C: 7E40035F
	v_mov_b32_e32 v33, v99                                     // 000000006D20: 7E420363
	v_mov_b32_e32 v34, v103                                    // 000000006D24: 7E440367
	v_mov_b32_e32 v35, v107                                    // 000000006D28: 7E46036B
	v_mul_f32_e32 v32, s43, v32                                // 000000006D2C: 0A40402B
	v_mul_f32_e32 v33, s43, v33                                // 000000006D30: 0A42422B
	v_mul_f32_e32 v34, s43, v34                                // 000000006D34: 0A44442B
	v_mul_f32_e32 v35, s43, v35                                // 000000006D38: 0A46462B
	ds_write_b128 v41, v[32:35] offset:3120                    // 000000006D3C: D9BE0C30 00002029
	v_mov_b32_e32 v32, v108                                    // 000000006D44: 7E40036C
	v_mov_b32_e32 v33, v112                                    // 000000006D48: 7E420370
	v_mov_b32_e32 v34, v116                                    // 000000006D4C: 7E440374
	v_mov_b32_e32 v35, v120                                    // 000000006D50: 7E460378
	v_mul_f32_e32 v32, s43, v32                                // 000000006D54: 0A40402B
	v_mul_f32_e32 v33, s43, v33                                // 000000006D58: 0A42422B
	v_mul_f32_e32 v34, s43, v34                                // 000000006D5C: 0A44442B
	v_mul_f32_e32 v35, s43, v35                                // 000000006D60: 0A46462B
	ds_write_b128 v41, v[32:35] offset:4160                    // 000000006D64: D9BE1040 00002029
	v_mov_b32_e32 v32, v109                                    // 000000006D6C: 7E40036D
	v_mov_b32_e32 v33, v113                                    // 000000006D70: 7E420371
	v_mov_b32_e32 v34, v117                                    // 000000006D74: 7E440375
	v_mov_b32_e32 v35, v121                                    // 000000006D78: 7E460379
	v_mul_f32_e32 v32, s43, v32                                // 000000006D7C: 0A40402B
	v_mul_f32_e32 v33, s43, v33                                // 000000006D80: 0A42422B
	v_mul_f32_e32 v34, s43, v34                                // 000000006D84: 0A44442B
	v_mul_f32_e32 v35, s43, v35                                // 000000006D88: 0A46462B
	ds_write_b128 v41, v[32:35] offset:5200                    // 000000006D8C: D9BE1450 00002029
	v_mov_b32_e32 v32, v110                                    // 000000006D94: 7E40036E
	v_mov_b32_e32 v33, v114                                    // 000000006D98: 7E420372
	v_mov_b32_e32 v34, v118                                    // 000000006D9C: 7E440376
	v_mov_b32_e32 v35, v122                                    // 000000006DA0: 7E46037A
	v_mul_f32_e32 v32, s43, v32                                // 000000006DA4: 0A40402B
	v_mul_f32_e32 v33, s43, v33                                // 000000006DA8: 0A42422B
	v_mul_f32_e32 v34, s43, v34                                // 000000006DAC: 0A44442B
	v_mul_f32_e32 v35, s43, v35                                // 000000006DB0: 0A46462B
	ds_write_b128 v41, v[32:35] offset:6240                    // 000000006DB4: D9BE1860 00002029
	v_mov_b32_e32 v32, v111                                    // 000000006DBC: 7E40036F
	v_mov_b32_e32 v33, v115                                    // 000000006DC0: 7E420373
	v_mov_b32_e32 v34, v119                                    // 000000006DC4: 7E440377
	v_mov_b32_e32 v35, v123                                    // 000000006DC8: 7E46037B
	v_mul_f32_e32 v32, s43, v32                                // 000000006DCC: 0A40402B
	v_mul_f32_e32 v33, s43, v33                                // 000000006DD0: 0A42422B
	v_mul_f32_e32 v34, s43, v34                                // 000000006DD4: 0A44442B
	v_mul_f32_e32 v35, s43, v35                                // 000000006DD8: 0A46462B
	ds_write_b128 v41, v[32:35] offset:7280                    // 000000006DDC: D9BE1C70 00002029
	v_mov_b32_e32 v32, 0                                       // 000000006DE4: 7E400280
	v_mov_b32_e32 v33, 4                                       // 000000006DE8: 7E420284
	s_mov_b32 s56, 0xffff0000                                  // 000000006DEC: BEB800FF FFFF0000
	s_mov_b32 s57, 0xffff0000                                  // 000000006DF4: BEB900FF FFFF0000
	v_cndmask_b32_e64 v34, v32, v33, s[56:57]                  // 000000006DFC: D1000022 00E24320
	v_and_b32_e32 v32, 3, v0                                   // 000000006E04: 26400083
	v_add_u32_e32 v32, v32, v34                                // 000000006E08: 68404520
	s_mov_b32 s56, 0x104                                       // 000000006E0C: BEB800FF 00000104
	v_mul_i32_i24_e32 v32, s56, v32                            // 000000006E14: 0C404038
	v_and_b32_e32 v33, 15, v0                                  // 000000006E18: 2642008F
	v_lshrrev_b32_e32 v33, 2, v33                              // 000000006E1C: 20424282
	s_mov_b32 s56, 64                                          // 000000006E20: BEB800C0
	v_mul_i32_i24_e32 v33, s56, v33                            // 000000006E24: 0C424238
	v_lshrrev_b32_e32 v34, 5, v0                               // 000000006E28: 20440085
	v_lshlrev_b32_e32 v34, 2, v34                              // 000000006E2C: 24444482
	v_add_u32_e32 v41, v32, v33                                // 000000006E30: 68524320
	v_add_u32_e32 v41, v41, v34                                // 000000006E34: 68524529
	s_mul_i32 s56, s7, 0x820                                   // 000000006E38: 9238FF07 00000820
	v_add_u32_e32 v41, s56, v41                                // 000000006E40: 68525238
	v_lshlrev_b32_e32 v41, 2, v41                              // 000000006E44: 24525282
	s_waitcnt lgkmcnt(0)                                       // 000000006E48: BF8CC07F
	ds_read_b128 v[92:95], v41                                 // 000000006E4C: D9FE0000 5C000029
	ds_read_b128 v[96:99], v41 offset:32                       // 000000006E54: D9FE0020 60000029
	ds_read_b128 v[100:103], v41 offset:64                     // 000000006E5C: D9FE0040 64000029
	ds_read_b128 v[104:107], v41 offset:96                     // 000000006E64: D9FE0060 68000029
	ds_read_b128 v[108:111], v41 offset:128                    // 000000006E6C: D9FE0080 6C000029
	ds_read_b128 v[112:115], v41 offset:160                    // 000000006E74: D9FE00A0 70000029
	ds_read_b128 v[116:119], v41 offset:192                    // 000000006E7C: D9FE00C0 74000029
	ds_read_b128 v[120:123], v41 offset:224                    // 000000006E84: D9FE00E0 78000029
	s_mul_i32 s75, 0x800, s65                                  // 000000006E8C: 924B41FF 00000800
	s_mov_b32 s10, s75                                         // 000000006E94: BE8A004B
	s_mul_i32 s56, s87, s75                                    // 000000006E98: 92384B57
	s_add_u32 s8, s56, s8                                      // 000000006E9C: 80080838
	s_addc_u32 s9, 0, s9                                       // 000000006EA0: 82090980
	s_mul_i32 s56, s7, 0x200                                   // 000000006EA4: 9238FF07 00000200
	v_lshrrev_b32_e32 v32, 5, v0                               // 000000006EAC: 20400085
	s_mov_b32 s57, 0x800                                       // 000000006EB0: BEB900FF 00000800
	v_mul_i32_i24_e32 v32, s57, v32                            // 000000006EB8: 0C404039
	v_and_b32_e32 v17, 31, v0                                  // 000000006EBC: 2622009F
	v_lshlrev_b32_e32 v17, 4, v17                              // 000000006EC0: 24222284
	v_add_u32_e32 v17, v17, v32                                // 000000006EC4: 68224111
	v_add_u32_e64 v17, v17, s56                                // 000000006EC8: D1340011 00007111
	s_waitcnt lgkmcnt(7)                                       // 000000006ED0: BF8CC77F
	buffer_store_dwordx4 v[92:95], v17, s[8:11], 0 offen       // 000000006ED4: E07C1000 80025C11
	v_add_u32_e32 v17, 0x1000, v17                             // 000000006EDC: 682222FF 00001000
	s_waitcnt lgkmcnt(6)                                       // 000000006EE4: BF8CC67F
	buffer_store_dwordx4 v[96:99], v17, s[8:11], 0 offen       // 000000006EE8: E07C1000 80026011
	v_add_u32_e32 v17, 0x1000, v17                             // 000000006EF0: 682222FF 00001000
	s_waitcnt lgkmcnt(5)                                       // 000000006EF8: BF8CC57F
	buffer_store_dwordx4 v[100:103], v17, s[8:11], 0 offen     // 000000006EFC: E07C1000 80026411
	v_add_u32_e32 v17, 0x1000, v17                             // 000000006F04: 682222FF 00001000
	s_waitcnt lgkmcnt(4)                                       // 000000006F0C: BF8CC47F
	buffer_store_dwordx4 v[104:107], v17, s[8:11], 0 offen     // 000000006F10: E07C1000 80026811
	v_add_u32_e32 v17, 0x1000, v17                             // 000000006F18: 682222FF 00001000
	s_waitcnt lgkmcnt(3)                                       // 000000006F20: BF8CC37F
	buffer_store_dwordx4 v[108:111], v17, s[8:11], 0 offen     // 000000006F24: E07C1000 80026C11
	v_add_u32_e32 v17, 0x1000, v17                             // 000000006F2C: 682222FF 00001000
	s_waitcnt lgkmcnt(2)                                       // 000000006F34: BF8CC27F
	buffer_store_dwordx4 v[112:115], v17, s[8:11], 0 offen     // 000000006F38: E07C1000 80027011
	v_add_u32_e32 v17, 0x1000, v17                             // 000000006F40: 682222FF 00001000
	s_waitcnt lgkmcnt(1)                                       // 000000006F48: BF8CC17F
	buffer_store_dwordx4 v[116:119], v17, s[8:11], 0 offen     // 000000006F4C: E07C1000 80027411
	v_add_u32_e32 v17, 0x1000, v17                             // 000000006F54: 682222FF 00001000
	s_waitcnt lgkmcnt(0)                                       // 000000006F5C: BF8CC07F
	buffer_store_dwordx4 v[120:123], v17, s[8:11], 0 offen     // 000000006F60: E07C1000 80027811
	v_add_u32_e32 v17, 0x1000, v17                             // 000000006F68: 682222FF 00001000
	buffer_store_dword v42, v16, s[12:15], 0 offen             // 000000006F70: E0701000 80032A10

0000000000006f78 <label_1340>:
	s_mov_b32 s56, 32                                          // 000000006F78: BEB800A0
	s_addk_i32 s85, 0x1                                        // 000000006F7C: B7550001
	s_cmp_lt_i32 s85, s86                                      // 000000006F80: BF045655
	s_cbranch_scc1 label_0029                                  // 000000006F84: BF85ED07

0000000000006f88 <label_1344>:
	s_waitcnt vmcnt(0) expcnt(0) lgkmcnt(0)                    // 000000006F88: BF8C0000
	s_endpgm                                                   // 000000006F8C: BF810000
